;; amdgpu-corpus repo=ROCm/vllm kind=compiled arch=gfx1201 opt=O3
	.amdgcn_target "amdgcn-amd-amdhsa--gfx1201"
	.amdhsa_code_object_version 6
	.section	.text._ZN4vllm24act_and_mul_quant_kernelIfTnPFT_RKS1_EXadL_ZNS_11silu_kernelIfEES1_S3_EEN3c1013Float8_e4m3fnEEEvPT1_PS2_PKfi,"axG",@progbits,_ZN4vllm24act_and_mul_quant_kernelIfTnPFT_RKS1_EXadL_ZNS_11silu_kernelIfEES1_S3_EEN3c1013Float8_e4m3fnEEEvPT1_PS2_PKfi,comdat
	.protected	_ZN4vllm24act_and_mul_quant_kernelIfTnPFT_RKS1_EXadL_ZNS_11silu_kernelIfEES1_S3_EEN3c1013Float8_e4m3fnEEEvPT1_PS2_PKfi ; -- Begin function _ZN4vllm24act_and_mul_quant_kernelIfTnPFT_RKS1_EXadL_ZNS_11silu_kernelIfEES1_S3_EEN3c1013Float8_e4m3fnEEEvPT1_PS2_PKfi
	.globl	_ZN4vllm24act_and_mul_quant_kernelIfTnPFT_RKS1_EXadL_ZNS_11silu_kernelIfEES1_S3_EEN3c1013Float8_e4m3fnEEEvPT1_PS2_PKfi
	.p2align	8
	.type	_ZN4vllm24act_and_mul_quant_kernelIfTnPFT_RKS1_EXadL_ZNS_11silu_kernelIfEES1_S3_EEN3c1013Float8_e4m3fnEEEvPT1_PS2_PKfi,@function
_ZN4vllm24act_and_mul_quant_kernelIfTnPFT_RKS1_EXadL_ZNS_11silu_kernelIfEES1_S3_EEN3c1013Float8_e4m3fnEEEvPT1_PS2_PKfi: ; @_ZN4vllm24act_and_mul_quant_kernelIfTnPFT_RKS1_EXadL_ZNS_11silu_kernelIfEES1_S3_EEN3c1013Float8_e4m3fnEEEvPT1_PS2_PKfi
; %bb.0:
	s_clause 0x2
	s_load_b32 s2, s[0:1], 0x24
	s_load_b32 s6, s[0:1], 0x18
	s_load_b64 s[10:11], s[0:1], 0x8
	s_mov_b32 s8, ttmp9
	s_wait_kmcnt 0x0
	s_abs_i32 s3, s2
	s_add_co_i32 s7, s6, s2
	s_cvt_f32_u32 s4, s3
	s_sub_co_i32 s5, 0, s3
	s_add_co_i32 s7, s7, -1
	s_delay_alu instid0(SALU_CYCLE_1) | instskip(SKIP_2) | instid1(SALU_CYCLE_1)
	s_abs_i32 s9, s7
	v_rcp_iflag_f32_e32 v1, s4
	s_xor_b32 s2, s7, s2
	s_ashr_i32 s2, s2, 31
	s_delay_alu instid0(TRANS32_DEP_1) | instskip(SKIP_2) | instid1(SALU_CYCLE_2)
	v_readfirstlane_b32 s4, v1
	s_mul_f32 s4, s4, 0x4f7ffffe
	s_wait_alu 0xfffe
	s_cvt_u32_f32 s4, s4
	s_wait_alu 0xfffe
	s_delay_alu instid0(SALU_CYCLE_2)
	s_mul_i32 s5, s5, s4
	s_wait_alu 0xfffe
	s_mul_hi_u32 s5, s4, s5
	s_wait_alu 0xfffe
	s_add_co_i32 s4, s4, s5
	s_wait_alu 0xfffe
	s_mul_hi_u32 s4, s9, s4
	s_wait_alu 0xfffe
	s_mul_i32 s5, s4, s3
	s_add_co_i32 s7, s4, 1
	s_wait_alu 0xfffe
	s_sub_co_i32 s5, s9, s5
	s_wait_alu 0xfffe
	s_sub_co_i32 s9, s5, s3
	s_cmp_ge_u32 s5, s3
	s_cselect_b32 s4, s7, s4
	s_cselect_b32 s5, s9, s5
	s_wait_alu 0xfffe
	s_add_co_i32 s7, s4, 1
	s_cmp_ge_u32 s5, s3
	s_mov_b32 s9, 0
	s_cselect_b32 s3, s7, s4
	s_delay_alu instid0(SALU_CYCLE_1) | instskip(NEXT) | instid1(SALU_CYCLE_1)
	s_xor_b32 s3, s3, s2
	s_sub_co_i32 s2, s3, s2
	s_delay_alu instid0(SALU_CYCLE_1) | instskip(NEXT) | instid1(SALU_CYCLE_1)
	s_and_b32 s3, s2, 3
	s_cmp_eq_u32 s3, 0
	s_cbranch_scc1 .LBB0_2
; %bb.1:
	s_ashr_i32 s3, s2, 31
	s_delay_alu instid0(SALU_CYCLE_1) | instskip(NEXT) | instid1(SALU_CYCLE_1)
	s_lshr_b32 s3, s3, 30
	s_add_co_i32 s2, s2, s3
	s_delay_alu instid0(SALU_CYCLE_1) | instskip(NEXT) | instid1(SALU_CYCLE_1)
	s_and_b32 s2, s2, -4
	s_add_co_i32 s2, s2, 4
.LBB0_2:
	s_delay_alu instid0(SALU_CYCLE_1)
	s_mul_i32 s3, s2, ttmp7
	s_clause 0x1
	s_load_b64 s[12:13], s[0:1], 0x10
	s_load_b64 s[14:15], s[0:1], 0x0
	s_add_co_i32 s2, s3, s2
	s_add_nc_u64 s[16:17], s[0:1], 32
	s_min_i32 s4, s2, s6
	s_mov_b32 s22, exec_lo
	s_wait_alu 0xfffe
	s_abs_i32 s2, s4
	s_delay_alu instid0(SALU_CYCLE_1) | instskip(SKIP_2) | instid1(SALU_CYCLE_1)
	s_cvt_f32_u32 s5, s2
	s_sub_co_i32 s7, 0, s2
	s_wait_alu 0xfffe
	v_rcp_iflag_f32_e32 v1, s5
	s_wait_kmcnt 0x0
	s_load_b32 s12, s[12:13], 0x0
	s_delay_alu instid0(TRANS32_DEP_1) | instskip(SKIP_2) | instid1(SALU_CYCLE_2)
	v_readfirstlane_b32 s5, v1
	s_mul_f32 s5, s5, 0x4f7ffffe
	s_wait_alu 0xfffe
	s_cvt_u32_f32 s5, s5
	s_wait_alu 0xfffe
	s_delay_alu instid0(SALU_CYCLE_2) | instskip(NEXT) | instid1(SALU_CYCLE_1)
	s_mul_i32 s7, s7, s5
	s_mul_hi_u32 s7, s5, s7
	s_delay_alu instid0(SALU_CYCLE_1)
	s_add_co_i32 s5, s5, s7
	s_wait_kmcnt 0x0
	v_div_scale_f32 v1, null, s12, s12, 1.0
	s_wait_alu 0xfffe
	s_lshr_b32 s5, s5, 30
	s_ashr_i32 s7, s6, 31
	s_wait_alu 0xfffe
	s_mul_i32 s5, s5, s2
	v_rcp_f32_e32 v2, v1
	s_wait_alu 0xfffe
	s_sub_co_i32 s5, 4, s5
	v_xor_b32_e32 v1, 0x80000000, v1
	s_wait_alu 0xfffe
	s_sub_co_i32 s13, s5, s2
	s_cmp_ge_u32 s5, s2
	v_div_scale_f32 v4, vcc_lo, 1.0, s12, 1.0
	s_wait_alu 0xfffe
	s_cselect_b32 s5, s13, s5
	s_wait_alu 0xfffe
	s_sub_co_i32 s13, s5, s2
	s_cmp_ge_u32 s5, s2
	v_fma_f32 v3, v1, v2, 1.0
	s_wait_alu 0xfffe
	s_cselect_b32 s5, s13, s5
	s_wait_alu 0xfffe
	s_cmp_eq_u32 s5, 0
	s_cselect_b32 s2, -1, 0
	s_ashr_i32 s13, s3, 31
	v_cndmask_b32_e64 v6, 0, 1, s2
	s_wait_alu 0xfffe
	s_lshr_b32 s13, s13, 30
	s_wait_alu 0xfffe
	s_add_co_i32 s3, s3, s13
	s_wait_alu 0xfffe
	s_ashr_i32 s2, s3, 2
	s_wait_alu 0xfffe
	v_dual_fmac_f32 v2, v3, v2 :: v_dual_add_nc_u32 v7, s2, v0
	s_delay_alu instid0(VALU_DEP_1) | instskip(NEXT) | instid1(VALU_DEP_1)
	v_mul_f32_e32 v3, v4, v2
	v_fma_f32 v5, v1, v3, v4
	s_delay_alu instid0(VALU_DEP_1) | instskip(NEXT) | instid1(VALU_DEP_1)
	v_fmac_f32_e32 v3, v5, v2
	v_fmac_f32_e32 v4, v1, v3
	s_delay_alu instid0(VALU_DEP_1) | instskip(NEXT) | instid1(VALU_DEP_1)
	v_div_fmas_f32 v1, v4, v2, v3
	v_div_fixup_f32 v5, v1, s12, 1.0
	s_mul_u64 s[12:13], s[6:7], s[8:9]
	v_cmpx_lt_i32_e64 v7, v6
	s_cbranch_execz .LBB0_5
; %bb.3:
	s_load_b32 s20, s[16:17], 0xc
	s_ashr_i32 s0, s2, 31
	v_add_co_u32 v3, s1, s2, v0
	s_delay_alu instid0(VALU_DEP_1)
	v_add_co_ci_u32_e64 v4, null, s0, 0, s1
	s_add_nc_u64 s[2:3], s[14:15], s[12:13]
	s_lshl_b64 s[0:1], s[8:9], 3
	v_mov_b32_e32 v2, 0
	v_lshlrev_b64_e32 v[8:9], 4, v[3:4]
	v_lshlrev_b64_e32 v[3:4], 3, v[3:4]
	s_wait_alu 0xfffe
	s_or_b32 s0, s0, 4
	s_lshl_b64 s[18:19], s[12:13], 3
	s_mov_b32 s23, 0
	s_mov_b32 s27, 0x43e00000
	v_add_co_u32 v8, vcc_lo, s10, v8
	s_wait_alu 0xfffd
	v_add_co_ci_u32_e64 v9, null, s11, v9, vcc_lo
	v_add_co_u32 v3, vcc_lo, s2, v3
	s_wait_alu 0xfffd
	v_add_co_ci_u32_e64 v4, null, s3, v4, vcc_lo
	s_wait_kmcnt 0x0
	s_and_b32 s24, s20, 0xffff
	s_wait_alu 0xfffe
	s_mul_u64 s[20:21], s[0:1], s[6:7]
	s_lshl_b32 s25, s24, 4
	s_lshl_b32 s26, s24, 3
.LBB0_4:                                ; =>This Inner Loop Header: Depth=1
	v_add_co_u32 v10, vcc_lo, v8, s18
	s_wait_alu 0xfffd
	v_add_co_ci_u32_e64 v11, null, s19, v9, vcc_lo
	v_add_co_u32 v14, vcc_lo, v8, s20
	s_wait_alu 0xfffd
	v_add_co_ci_u32_e64 v15, null, s21, v9, vcc_lo
	global_load_b128 v[10:13], v[10:11], off
	v_add_co_u32 v8, vcc_lo, v8, s25
	global_load_b128 v[14:17], v[14:15], off
	s_wait_alu 0xfffd
	v_add_co_ci_u32_e64 v9, null, 0, v9, vcc_lo
	v_add_nc_u32_e32 v7, s24, v7
	v_dual_mov_b32 v1, 0 :: v_dual_mov_b32 v18, 0
	v_dual_mov_b32 v19, 0 :: v_dual_mov_b32 v20, 0
	s_wait_loadcnt 0x1
	v_dual_mul_f32 v21, 0xbfb8aa3b, v10 :: v_dual_mul_f32 v22, 0xbfb8aa3b, v11
	v_cmp_nlt_f32_e32 vcc_lo, 0x42ce8ed0, v11
	v_mul_f32_e32 v24, 0xbfb8aa3b, v13
	v_cmp_nlt_f32_e64 s2, 0x42ce8ed0, v13
	s_delay_alu instid0(VALU_DEP_4)
	v_fma_f32 v25, 0xbfb8aa3b, v10, -v21
	v_fma_f32 v27, 0xbfb8aa3b, v11, -v22
	v_rndne_f32_e32 v28, v22
	v_rndne_f32_e32 v26, v21
	v_fma_f32 v31, 0xbfb8aa3b, v13, -v24
	v_fmac_f32_e32 v25, 0xb2a5705f, v10
	s_delay_alu instid0(VALU_DEP_4) | instskip(SKIP_3) | instid1(VALU_DEP_4)
	v_dual_fmac_f32 v27, 0xb2a5705f, v11 :: v_dual_sub_f32 v22, v22, v28
	v_mul_f32_e32 v23, 0xbfb8aa3b, v12
	v_cvt_i32_f32_e32 v28, v28
	v_rndne_f32_e32 v32, v24
	v_dual_sub_f32 v21, v21, v26 :: v_dual_add_f32 v22, v22, v27
	s_delay_alu instid0(VALU_DEP_4) | instskip(SKIP_1) | instid1(VALU_DEP_4)
	v_fma_f32 v29, 0xbfb8aa3b, v12, -v23
	v_rndne_f32_e32 v30, v23
	v_sub_f32_e32 v24, v24, v32
	v_cvt_i32_f32_e32 v32, v32
	v_exp_f32_e32 v22, v22
	v_cvt_i32_f32_e32 v26, v26
	v_cmp_nlt_f32_e64 s3, 0x42ce8ed0, v10
	v_cmp_nlt_f32_e64 s1, 0x42ce8ed0, v12
	v_cmp_ge_i32_e64 s0, v7, v6
	s_or_b32 s23, s0, s23
	s_delay_alu instid0(TRANS32_DEP_1) | instskip(SKIP_1) | instid1(VALU_DEP_1)
	v_ldexp_f32 v22, v22, v28
	s_wait_alu 0xfffd
	v_cndmask_b32_e32 v22, 0, v22, vcc_lo
	v_cmp_ngt_f32_e32 vcc_lo, 0xc2b17218, v11
	s_wait_alu 0xfffd
	s_delay_alu instid0(VALU_DEP_2) | instskip(SKIP_1) | instid1(VALU_DEP_2)
	v_dual_add_f32 v21, v21, v25 :: v_dual_cndmask_b32 v22, 0x7f800000, v22
	v_fmac_f32_e32 v31, 0xb2a5705f, v13
	v_exp_f32_e32 v21, v21
	s_delay_alu instid0(VALU_DEP_2) | instskip(NEXT) | instid1(VALU_DEP_2)
	v_dual_add_f32 v22, 1.0, v22 :: v_dual_fmac_f32 v29, 0xb2a5705f, v12
	v_add_f32_e32 v24, v24, v31
	s_delay_alu instid0(VALU_DEP_2) | instskip(NEXT) | instid1(VALU_DEP_2)
	v_div_scale_f32 v27, null, v22, v22, v11
	v_exp_f32_e32 v24, v24
	s_delay_alu instid0(TRANS32_DEP_2) | instskip(NEXT) | instid1(VALU_DEP_2)
	v_ldexp_f32 v21, v21, v26
	v_rcp_f32_e32 v34, v27
	s_delay_alu instid0(VALU_DEP_1) | instskip(SKIP_1) | instid1(TRANS32_DEP_2)
	v_cndmask_b32_e64 v21, 0, v21, s3
	v_cmp_ngt_f32_e64 s3, 0xc2b17218, v10
	v_ldexp_f32 v24, v24, v32
	s_wait_alu 0xf1ff
	s_delay_alu instid0(VALU_DEP_2) | instskip(NEXT) | instid1(TRANS32_DEP_1)
	v_cndmask_b32_e64 v21, 0x7f800000, v21, s3
	v_fma_f32 v38, -v27, v34, 1.0
	s_delay_alu instid0(VALU_DEP_3) | instskip(SKIP_1) | instid1(VALU_DEP_3)
	v_cndmask_b32_e64 v24, 0, v24, s2
	v_cmp_ngt_f32_e64 s2, 0xc2b17218, v13
	v_fmac_f32_e32 v34, v38, v34
	s_wait_alu 0xf1ff
	s_delay_alu instid0(VALU_DEP_2) | instskip(SKIP_2) | instid1(VALU_DEP_2)
	v_cndmask_b32_e64 v24, 0x7f800000, v24, s2
	v_sub_f32_e32 v23, v23, v30
	v_cvt_i32_f32_e32 v30, v30
	v_dual_add_f32 v24, 1.0, v24 :: v_dual_add_f32 v23, v23, v29
	s_delay_alu instid0(VALU_DEP_1) | instskip(NEXT) | instid1(VALU_DEP_2)
	v_div_scale_f32 v31, null, v24, v24, v13
	v_exp_f32_e32 v23, v23
	v_div_scale_f32 v32, s3, v13, v24, v13
	s_delay_alu instid0(VALU_DEP_2) | instskip(NEXT) | instid1(TRANS32_DEP_2)
	v_rcp_f32_e32 v36, v31
	v_ldexp_f32 v23, v23, v30
	s_delay_alu instid0(TRANS32_DEP_1) | instskip(SKIP_1) | instid1(VALU_DEP_3)
	v_fma_f32 v40, -v31, v36, 1.0
	v_add_f32_e32 v21, 1.0, v21
	v_cndmask_b32_e64 v23, 0, v23, s1
	v_cmp_ngt_f32_e64 s1, 0xc2b17218, v12
	s_delay_alu instid0(VALU_DEP_4) | instskip(NEXT) | instid1(VALU_DEP_4)
	v_fmac_f32_e32 v36, v40, v36
	v_div_scale_f32 v25, null, v21, v21, v10
	s_wait_alu 0xf1ff
	s_delay_alu instid0(VALU_DEP_3) | instskip(SKIP_1) | instid1(VALU_DEP_3)
	v_cndmask_b32_e64 v23, 0x7f800000, v23, s1
	v_div_scale_f32 v28, s1, v11, v22, v11
	v_rcp_f32_e32 v33, v25
	v_div_scale_f32 v26, vcc_lo, v10, v21, v10
	s_delay_alu instid0(VALU_DEP_2) | instskip(SKIP_1) | instid1(VALU_DEP_2)
	v_dual_add_f32 v23, 1.0, v23 :: v_dual_mul_f32 v38, v28, v34
	v_mul_f32_e32 v40, v32, v36
	v_div_scale_f32 v29, null, v23, v23, v12
	s_delay_alu instid0(TRANS32_DEP_1) | instskip(SKIP_1) | instid1(VALU_DEP_3)
	v_fma_f32 v37, -v25, v33, 1.0
	v_div_scale_f32 v30, s2, v12, v23, v12
	v_rcp_f32_e32 v35, v29
	v_fma_f32 v44, -v31, v40, v32
	s_delay_alu instid0(VALU_DEP_3) | instskip(SKIP_1) | instid1(VALU_DEP_2)
	v_fmac_f32_e32 v33, v37, v33
	v_fma_f32 v42, -v27, v38, v28
	v_dual_fmac_f32 v40, v44, v36 :: v_dual_mul_f32 v37, v26, v33
	s_delay_alu instid0(VALU_DEP_2) | instskip(NEXT) | instid1(TRANS32_DEP_1)
	v_fmac_f32_e32 v38, v42, v34
	v_fma_f32 v39, -v29, v35, 1.0
	s_delay_alu instid0(VALU_DEP_3) | instskip(NEXT) | instid1(VALU_DEP_2)
	v_fma_f32 v41, -v25, v37, v26
	v_fmac_f32_e32 v35, v39, v35
	s_delay_alu instid0(VALU_DEP_2) | instskip(NEXT) | instid1(VALU_DEP_2)
	v_fmac_f32_e32 v37, v41, v33
	v_mul_f32_e32 v39, v30, v35
	s_delay_alu instid0(VALU_DEP_2) | instskip(SKIP_2) | instid1(VALU_DEP_4)
	v_fma_f32 v25, -v25, v37, v26
	v_fma_f32 v26, -v27, v38, v28
	;; [unrolled: 1-line block ×4, first 2 shown]
	s_wait_alu 0xfffd
	v_div_fmas_f32 v25, v25, v33, v37
	s_mov_b32 vcc_lo, s1
	s_wait_alu 0xfffe
	v_div_fmas_f32 v26, v26, v34, v38
	s_mov_b32 vcc_lo, s2
	v_div_fixup_f32 v10, v25, v21, v10
	s_delay_alu instid0(VALU_DEP_2) | instskip(SKIP_1) | instid1(VALU_DEP_2)
	v_div_fixup_f32 v11, v26, v22, v11
	s_wait_loadcnt 0x0
	v_dual_mul_f32 v10, v14, v10 :: v_dual_fmac_f32 v39, v43, v35
	s_delay_alu instid0(VALU_DEP_1) | instskip(NEXT) | instid1(VALU_DEP_2)
	v_mul_f32_e32 v10, v5, v10
	v_fma_f32 v27, -v29, v39, v30
	s_delay_alu instid0(VALU_DEP_2) | instskip(SKIP_1) | instid1(VALU_DEP_2)
	v_minmax_num_f32 v10, v10, s27, 0xc3e00000
	s_wait_alu 0xfffe
	v_div_fmas_f32 v27, v27, v35, v39
	s_mov_b32 vcc_lo, s3
	s_wait_alu 0xfffe
	v_div_fmas_f32 v21, v28, v36, v40
	v_med3_num_f32 v14, v10, s27, 0xc3e00000
	v_cmp_nlg_f32_e64 vcc_lo, 0x7f800000, |v10|
	v_div_fixup_f32 v12, v27, v23, v12
	s_delay_alu instid0(VALU_DEP_4) | instskip(SKIP_2) | instid1(VALU_DEP_3)
	v_div_fixup_f32 v13, v21, v24, v13
	s_wait_alu 0xfffd
	v_cndmask_b32_e32 v10, v14, v10, vcc_lo
	v_dual_mul_f32 v12, v16, v12 :: v_dual_mul_f32 v11, v15, v11
	s_delay_alu instid0(VALU_DEP_3) | instskip(NEXT) | instid1(VALU_DEP_3)
	v_mul_f32_e32 v13, v17, v13
	v_cvt_pk_fp8_f32 v1, v10, v10
	s_delay_alu instid0(VALU_DEP_3) | instskip(NEXT) | instid1(VALU_DEP_3)
	v_mul_f32_e32 v12, v5, v12
	v_mul_f32_e32 v13, v5, v13
	s_delay_alu instid0(VALU_DEP_3) | instskip(NEXT) | instid1(VALU_DEP_3)
	v_and_b32_e32 v1, 0xff, v1
	v_minmax_num_f32 v12, v12, s27, 0xc3e00000
	s_delay_alu instid0(VALU_DEP_3) | instskip(NEXT) | instid1(VALU_DEP_2)
	v_minmax_num_f32 v13, v13, s27, 0xc3e00000
	v_med3_num_f32 v16, v12, s27, 0xc3e00000
	v_cmp_nlg_f32_e64 s2, 0x7f800000, |v12|
	s_delay_alu instid0(VALU_DEP_3)
	v_med3_num_f32 v14, v13, s27, 0xc3e00000
	v_cmp_nlg_f32_e64 vcc_lo, 0x7f800000, |v13|
	v_mul_f32_e32 v11, v5, v11
	s_wait_alu 0xf1ff
	v_cndmask_b32_e64 v12, v16, v12, s2
	s_wait_alu 0xfffd
	v_cndmask_b32_e32 v10, v14, v13, vcc_lo
	v_minmax_num_f32 v11, v11, s27, 0xc3e00000
	s_delay_alu instid0(VALU_DEP_3) | instskip(NEXT) | instid1(VALU_DEP_3)
	v_cvt_pk_fp8_f32 v19, v12, v12
	v_cvt_pk_fp8_f32 v20, v10, v10
	s_delay_alu instid0(VALU_DEP_3) | instskip(SKIP_2) | instid1(VALU_DEP_1)
	v_med3_num_f32 v15, v11, s27, 0xc3e00000
	v_cmp_nlg_f32_e64 s1, 0x7f800000, |v11|
	s_wait_alu 0xf1ff
	v_cndmask_b32_e64 v11, v15, v11, s1
	s_delay_alu instid0(VALU_DEP_1) | instskip(SKIP_1) | instid1(VALU_DEP_2)
	v_cvt_pk_fp8_f32 v18, v11, v11
	v_lshlrev_b32_e32 v11, 16, v19
	v_lshlrev_b32_e32 v10, 8, v18
	s_delay_alu instid0(VALU_DEP_2) | instskip(NEXT) | instid1(VALU_DEP_2)
	v_perm_b32 v11, v20, v11, 0x4020c0c
	v_and_b32_e32 v10, 0xff00, v10
	s_delay_alu instid0(VALU_DEP_1)
	v_or3_b32 v1, v11, v10, v1
	global_store_b64 v[3:4], v[1:2], off
	v_add_co_u32 v3, vcc_lo, v3, s26
	s_wait_alu 0xfffd
	v_add_co_ci_u32_e64 v4, null, 0, v4, vcc_lo
	s_and_not1_b32 exec_lo, exec_lo, s23
	s_cbranch_execnz .LBB0_4
.LBB0_5:
	s_or_b32 exec_lo, exec_lo, s22
	s_sub_co_i32 s0, 4, s5
	s_wait_alu 0xfffe
	s_cmp_gt_i32 s4, s0
	s_cbranch_scc0 .LBB0_9
; %bb.6:
	v_add_nc_u32_e32 v0, s0, v0
	s_mov_b32 s0, exec_lo
	s_delay_alu instid0(VALU_DEP_1)
	v_cmpx_gt_u32_e64 s4, v0
	s_cbranch_execz .LBB0_9
; %bb.7:
	s_load_b32 s0, s[16:17], 0xc
	v_dual_mov_b32 v1, 0 :: v_dual_lshlrev_b32 v2, 2, v0
	s_add_nc_u64 s[2:3], s[14:15], s[12:13]
	s_lshl_b64 s[14:15], s[8:9], 3
	s_mov_b32 s5, 0
	s_or_b32 s14, s14, 4
	v_add_co_u32 v2, s10, s10, v2
	s_wait_alu 0xf1ff
	v_add_co_ci_u32_e64 v3, null, s11, 0, s10
	s_lshl_b64 s[8:9], s[12:13], 3
	s_mov_b32 s1, 0x43e00000
	s_mul_u64 s[6:7], s[14:15], s[6:7]
	s_wait_alu 0xfffe
	s_mov_b32 s12, s5
	s_wait_kmcnt 0x0
	s_and_b32 s10, s0, 0xffff
	s_wait_alu 0xfffe
	s_lshl_b32 s11, s10, 2
.LBB0_8:                                ; =>This Inner Loop Header: Depth=1
	v_add_co_u32 v6, vcc_lo, v2, s8
	s_wait_alu 0xfffd
	v_add_co_ci_u32_e64 v7, null, s9, v3, vcc_lo
	global_load_b32 v4, v[6:7], off
	v_add_co_u32 v6, vcc_lo, v2, s6
	s_wait_alu 0xfffd
	v_add_co_ci_u32_e64 v7, null, s7, v3, vcc_lo
	s_wait_alu 0xfffe
	v_add_co_u32 v2, s0, v2, s11
	s_wait_alu 0xf1ff
	v_add_co_ci_u32_e64 v3, null, 0, v3, s0
	global_load_b32 v6, v[6:7], off
	s_wait_loadcnt 0x1
	v_mul_f32_e32 v7, 0xbfb8aa3b, v4
	v_cmp_nlt_f32_e32 vcc_lo, 0x42ce8ed0, v4
	s_delay_alu instid0(VALU_DEP_2) | instskip(SKIP_1) | instid1(VALU_DEP_1)
	v_fma_f32 v8, 0xbfb8aa3b, v4, -v7
	v_rndne_f32_e32 v9, v7
	v_dual_fmac_f32 v8, 0xb2a5705f, v4 :: v_dual_sub_f32 v7, v7, v9
	s_delay_alu instid0(VALU_DEP_1) | instskip(SKIP_1) | instid1(VALU_DEP_2)
	v_add_f32_e32 v7, v7, v8
	v_cvt_i32_f32_e32 v8, v9
	v_exp_f32_e32 v7, v7
	s_delay_alu instid0(TRANS32_DEP_1) | instskip(SKIP_1) | instid1(VALU_DEP_1)
	v_ldexp_f32 v7, v7, v8
	s_wait_alu 0xfffd
	v_cndmask_b32_e32 v7, 0, v7, vcc_lo
	v_cmp_ngt_f32_e32 vcc_lo, 0xc2b17218, v4
	s_wait_alu 0xfffd
	s_delay_alu instid0(VALU_DEP_2) | instskip(NEXT) | instid1(VALU_DEP_1)
	v_cndmask_b32_e32 v7, 0x7f800000, v7, vcc_lo
	v_add_f32_e32 v7, 1.0, v7
	s_delay_alu instid0(VALU_DEP_1) | instskip(SKIP_1) | instid1(VALU_DEP_2)
	v_div_scale_f32 v8, null, v7, v7, v4
	v_div_scale_f32 v11, vcc_lo, v4, v7, v4
	v_rcp_f32_e32 v9, v8
	s_delay_alu instid0(TRANS32_DEP_1) | instskip(NEXT) | instid1(VALU_DEP_1)
	v_fma_f32 v10, -v8, v9, 1.0
	v_fmac_f32_e32 v9, v10, v9
	s_delay_alu instid0(VALU_DEP_1) | instskip(NEXT) | instid1(VALU_DEP_1)
	v_mul_f32_e32 v10, v11, v9
	v_fma_f32 v12, -v8, v10, v11
	s_delay_alu instid0(VALU_DEP_1) | instskip(NEXT) | instid1(VALU_DEP_1)
	v_fmac_f32_e32 v10, v12, v9
	v_fma_f32 v8, -v8, v10, v11
	s_wait_alu 0xfffd
	s_delay_alu instid0(VALU_DEP_1) | instskip(SKIP_1) | instid1(VALU_DEP_2)
	v_div_fmas_f32 v8, v8, v9, v10
	v_mov_b32_e32 v9, 0
	v_div_fixup_f32 v4, v8, v7, v4
	s_wait_loadcnt 0x0
	s_delay_alu instid0(VALU_DEP_1) | instskip(SKIP_3) | instid1(VALU_DEP_3)
	v_mul_f32_e32 v4, v6, v4
	v_add_co_u32 v6, vcc_lo, s2, v0
	s_wait_alu 0xfffd
	v_add_co_ci_u32_e64 v7, null, s3, v1, vcc_lo
	v_mul_f32_e32 v4, v5, v4
	v_add_co_u32 v0, vcc_lo, v0, s10
	s_wait_alu 0xfffd
	v_add_co_ci_u32_e64 v1, null, 0, v1, vcc_lo
	s_delay_alu instid0(VALU_DEP_3) | instskip(NEXT) | instid1(VALU_DEP_1)
	v_minmax_num_f32 v4, v4, s1, 0xc3e00000
	v_med3_num_f32 v8, v4, s1, 0xc3e00000
	v_cmp_nlg_f32_e64 vcc_lo, 0x7f800000, |v4|
	s_wait_alu 0xfffd
	s_delay_alu instid0(VALU_DEP_2) | instskip(SKIP_1) | instid1(VALU_DEP_2)
	v_cndmask_b32_e32 v4, v8, v4, vcc_lo
	v_cmp_le_u64_e32 vcc_lo, s[4:5], v[0:1]
	v_cvt_pk_fp8_f32 v9, v4, v4
	s_or_b32 s12, vcc_lo, s12
	global_store_b8 v[6:7], v9, off
	s_wait_alu 0xfffe
	s_and_not1_b32 exec_lo, exec_lo, s12
	s_cbranch_execnz .LBB0_8
.LBB0_9:
	s_endpgm
	.section	.rodata,"a",@progbits
	.p2align	6, 0x0
	.amdhsa_kernel _ZN4vllm24act_and_mul_quant_kernelIfTnPFT_RKS1_EXadL_ZNS_11silu_kernelIfEES1_S3_EEN3c1013Float8_e4m3fnEEEvPT1_PS2_PKfi
		.amdhsa_group_segment_fixed_size 0
		.amdhsa_private_segment_fixed_size 0
		.amdhsa_kernarg_size 288
		.amdhsa_user_sgpr_count 2
		.amdhsa_user_sgpr_dispatch_ptr 0
		.amdhsa_user_sgpr_queue_ptr 0
		.amdhsa_user_sgpr_kernarg_segment_ptr 1
		.amdhsa_user_sgpr_dispatch_id 0
		.amdhsa_user_sgpr_private_segment_size 0
		.amdhsa_wavefront_size32 1
		.amdhsa_uses_dynamic_stack 0
		.amdhsa_enable_private_segment 0
		.amdhsa_system_sgpr_workgroup_id_x 1
		.amdhsa_system_sgpr_workgroup_id_y 1
		.amdhsa_system_sgpr_workgroup_id_z 0
		.amdhsa_system_sgpr_workgroup_info 0
		.amdhsa_system_vgpr_workitem_id 0
		.amdhsa_next_free_vgpr 45
		.amdhsa_next_free_sgpr 28
		.amdhsa_reserve_vcc 1
		.amdhsa_float_round_mode_32 0
		.amdhsa_float_round_mode_16_64 0
		.amdhsa_float_denorm_mode_32 3
		.amdhsa_float_denorm_mode_16_64 3
		.amdhsa_fp16_overflow 0
		.amdhsa_workgroup_processor_mode 1
		.amdhsa_memory_ordered 1
		.amdhsa_forward_progress 1
		.amdhsa_inst_pref_size 22
		.amdhsa_round_robin_scheduling 0
		.amdhsa_exception_fp_ieee_invalid_op 0
		.amdhsa_exception_fp_denorm_src 0
		.amdhsa_exception_fp_ieee_div_zero 0
		.amdhsa_exception_fp_ieee_overflow 0
		.amdhsa_exception_fp_ieee_underflow 0
		.amdhsa_exception_fp_ieee_inexact 0
		.amdhsa_exception_int_div_zero 0
	.end_amdhsa_kernel
	.section	.text._ZN4vllm24act_and_mul_quant_kernelIfTnPFT_RKS1_EXadL_ZNS_11silu_kernelIfEES1_S3_EEN3c1013Float8_e4m3fnEEEvPT1_PS2_PKfi,"axG",@progbits,_ZN4vllm24act_and_mul_quant_kernelIfTnPFT_RKS1_EXadL_ZNS_11silu_kernelIfEES1_S3_EEN3c1013Float8_e4m3fnEEEvPT1_PS2_PKfi,comdat
.Lfunc_end0:
	.size	_ZN4vllm24act_and_mul_quant_kernelIfTnPFT_RKS1_EXadL_ZNS_11silu_kernelIfEES1_S3_EEN3c1013Float8_e4m3fnEEEvPT1_PS2_PKfi, .Lfunc_end0-_ZN4vllm24act_and_mul_quant_kernelIfTnPFT_RKS1_EXadL_ZNS_11silu_kernelIfEES1_S3_EEN3c1013Float8_e4m3fnEEEvPT1_PS2_PKfi
                                        ; -- End function
	.set _ZN4vllm24act_and_mul_quant_kernelIfTnPFT_RKS1_EXadL_ZNS_11silu_kernelIfEES1_S3_EEN3c1013Float8_e4m3fnEEEvPT1_PS2_PKfi.num_vgpr, 45
	.set _ZN4vllm24act_and_mul_quant_kernelIfTnPFT_RKS1_EXadL_ZNS_11silu_kernelIfEES1_S3_EEN3c1013Float8_e4m3fnEEEvPT1_PS2_PKfi.num_agpr, 0
	.set _ZN4vllm24act_and_mul_quant_kernelIfTnPFT_RKS1_EXadL_ZNS_11silu_kernelIfEES1_S3_EEN3c1013Float8_e4m3fnEEEvPT1_PS2_PKfi.numbered_sgpr, 28
	.set _ZN4vllm24act_and_mul_quant_kernelIfTnPFT_RKS1_EXadL_ZNS_11silu_kernelIfEES1_S3_EEN3c1013Float8_e4m3fnEEEvPT1_PS2_PKfi.num_named_barrier, 0
	.set _ZN4vllm24act_and_mul_quant_kernelIfTnPFT_RKS1_EXadL_ZNS_11silu_kernelIfEES1_S3_EEN3c1013Float8_e4m3fnEEEvPT1_PS2_PKfi.private_seg_size, 0
	.set _ZN4vllm24act_and_mul_quant_kernelIfTnPFT_RKS1_EXadL_ZNS_11silu_kernelIfEES1_S3_EEN3c1013Float8_e4m3fnEEEvPT1_PS2_PKfi.uses_vcc, 1
	.set _ZN4vllm24act_and_mul_quant_kernelIfTnPFT_RKS1_EXadL_ZNS_11silu_kernelIfEES1_S3_EEN3c1013Float8_e4m3fnEEEvPT1_PS2_PKfi.uses_flat_scratch, 0
	.set _ZN4vllm24act_and_mul_quant_kernelIfTnPFT_RKS1_EXadL_ZNS_11silu_kernelIfEES1_S3_EEN3c1013Float8_e4m3fnEEEvPT1_PS2_PKfi.has_dyn_sized_stack, 0
	.set _ZN4vllm24act_and_mul_quant_kernelIfTnPFT_RKS1_EXadL_ZNS_11silu_kernelIfEES1_S3_EEN3c1013Float8_e4m3fnEEEvPT1_PS2_PKfi.has_recursion, 0
	.set _ZN4vllm24act_and_mul_quant_kernelIfTnPFT_RKS1_EXadL_ZNS_11silu_kernelIfEES1_S3_EEN3c1013Float8_e4m3fnEEEvPT1_PS2_PKfi.has_indirect_call, 0
	.section	.AMDGPU.csdata,"",@progbits
; Kernel info:
; codeLenInByte = 2696
; TotalNumSgprs: 30
; NumVgprs: 45
; ScratchSize: 0
; MemoryBound: 0
; FloatMode: 240
; IeeeMode: 1
; LDSByteSize: 0 bytes/workgroup (compile time only)
; SGPRBlocks: 0
; VGPRBlocks: 5
; NumSGPRsForWavesPerEU: 30
; NumVGPRsForWavesPerEU: 45
; Occupancy: 16
; WaveLimiterHint : 0
; COMPUTE_PGM_RSRC2:SCRATCH_EN: 0
; COMPUTE_PGM_RSRC2:USER_SGPR: 2
; COMPUTE_PGM_RSRC2:TRAP_HANDLER: 0
; COMPUTE_PGM_RSRC2:TGID_X_EN: 1
; COMPUTE_PGM_RSRC2:TGID_Y_EN: 1
; COMPUTE_PGM_RSRC2:TGID_Z_EN: 0
; COMPUTE_PGM_RSRC2:TIDIG_COMP_CNT: 0
	.section	.text._ZN4vllm24act_and_mul_quant_kernelIfTnPFT_RKS1_EXadL_ZNS_11silu_kernelIfEES1_S3_EEN3c1015Float8_e4m3fnuzEEEvPT1_PS2_PKfi,"axG",@progbits,_ZN4vllm24act_and_mul_quant_kernelIfTnPFT_RKS1_EXadL_ZNS_11silu_kernelIfEES1_S3_EEN3c1015Float8_e4m3fnuzEEEvPT1_PS2_PKfi,comdat
	.protected	_ZN4vllm24act_and_mul_quant_kernelIfTnPFT_RKS1_EXadL_ZNS_11silu_kernelIfEES1_S3_EEN3c1015Float8_e4m3fnuzEEEvPT1_PS2_PKfi ; -- Begin function _ZN4vllm24act_and_mul_quant_kernelIfTnPFT_RKS1_EXadL_ZNS_11silu_kernelIfEES1_S3_EEN3c1015Float8_e4m3fnuzEEEvPT1_PS2_PKfi
	.globl	_ZN4vllm24act_and_mul_quant_kernelIfTnPFT_RKS1_EXadL_ZNS_11silu_kernelIfEES1_S3_EEN3c1015Float8_e4m3fnuzEEEvPT1_PS2_PKfi
	.p2align	8
	.type	_ZN4vllm24act_and_mul_quant_kernelIfTnPFT_RKS1_EXadL_ZNS_11silu_kernelIfEES1_S3_EEN3c1015Float8_e4m3fnuzEEEvPT1_PS2_PKfi,@function
_ZN4vllm24act_and_mul_quant_kernelIfTnPFT_RKS1_EXadL_ZNS_11silu_kernelIfEES1_S3_EEN3c1015Float8_e4m3fnuzEEEvPT1_PS2_PKfi: ; @_ZN4vllm24act_and_mul_quant_kernelIfTnPFT_RKS1_EXadL_ZNS_11silu_kernelIfEES1_S3_EEN3c1015Float8_e4m3fnuzEEEvPT1_PS2_PKfi
; %bb.0:
	s_clause 0x1
	s_load_b32 s2, s[0:1], 0x24
	s_load_b32 s1, s[0:1], 0x18
	s_wait_kmcnt 0x0
	s_abs_i32 s3, s2
	s_add_co_i32 s5, s1, s2
	s_cvt_f32_u32 s4, s3
	s_add_co_i32 s5, s5, -1
	s_delay_alu instid0(SALU_CYCLE_1) | instskip(NEXT) | instid1(SALU_CYCLE_1)
	s_abs_i32 s6, s5
	v_rcp_iflag_f32_e32 v1, s4
	s_sub_co_i32 s4, 0, s3
	s_xor_b32 s2, s5, s2
	s_delay_alu instid0(SALU_CYCLE_1) | instskip(NEXT) | instid1(TRANS32_DEP_1)
	s_ashr_i32 s2, s2, 31
	v_readfirstlane_b32 s0, v1
	s_mul_f32 s0, s0, 0x4f7ffffe
	s_delay_alu instid0(SALU_CYCLE_3) | instskip(SKIP_1) | instid1(SALU_CYCLE_2)
	s_cvt_u32_f32 s0, s0
	s_wait_alu 0xfffe
	s_mul_i32 s4, s4, s0
	s_wait_alu 0xfffe
	s_mul_hi_u32 s4, s0, s4
	s_wait_alu 0xfffe
	s_add_co_i32 s0, s0, s4
	s_delay_alu instid0(SALU_CYCLE_1) | instskip(NEXT) | instid1(SALU_CYCLE_1)
	s_mul_hi_u32 s0, s6, s0
	s_mul_i32 s4, s0, s3
	s_add_co_i32 s5, s0, 1
	s_wait_alu 0xfffe
	s_sub_co_i32 s4, s6, s4
	s_wait_alu 0xfffe
	s_sub_co_i32 s6, s4, s3
	s_cmp_ge_u32 s4, s3
	s_cselect_b32 s0, s5, s0
	s_cselect_b32 s4, s6, s4
	s_add_co_i32 s5, s0, 1
	s_wait_alu 0xfffe
	s_cmp_ge_u32 s4, s3
	s_cselect_b32 s0, s5, s0
	s_delay_alu instid0(SALU_CYCLE_1) | instskip(NEXT) | instid1(SALU_CYCLE_1)
	s_xor_b32 s0, s0, s2
	s_sub_co_i32 s2, s0, s2
	s_delay_alu instid0(SALU_CYCLE_1) | instskip(NEXT) | instid1(SALU_CYCLE_1)
	s_and_b32 s0, s2, 3
	s_cmp_eq_u32 s0, 0
	s_mov_b32 s0, 0
	s_cbranch_scc1 .LBB1_2
; %bb.1:
	s_ashr_i32 s3, s2, 31
	s_delay_alu instid0(SALU_CYCLE_1) | instskip(NEXT) | instid1(SALU_CYCLE_1)
	s_lshr_b32 s3, s3, 30
	s_add_co_i32 s2, s2, s3
	s_delay_alu instid0(SALU_CYCLE_1) | instskip(NEXT) | instid1(SALU_CYCLE_1)
	s_and_b32 s2, s2, -4
	s_add_co_i32 s2, s2, 4
.LBB1_2:
	s_delay_alu instid0(SALU_CYCLE_1) | instskip(SKIP_2) | instid1(SALU_CYCLE_1)
	s_mul_i32 s4, s2, ttmp7
	s_wait_alu 0xfffe
	s_add_co_i32 s2, s4, s2
	s_min_i32 s1, s2, s1
	s_delay_alu instid0(SALU_CYCLE_1) | instskip(NEXT) | instid1(SALU_CYCLE_1)
	s_abs_i32 s2, s1
	s_cvt_f32_u32 s3, s2
	s_sub_co_i32 s5, 0, s2
	s_delay_alu instid0(SALU_CYCLE_2) | instskip(NEXT) | instid1(TRANS32_DEP_1)
	v_rcp_iflag_f32_e32 v1, s3
	v_readfirstlane_b32 s3, v1
	s_mul_f32 s3, s3, 0x4f7ffffe
	s_wait_alu 0xfffe
	s_delay_alu instid0(SALU_CYCLE_2) | instskip(SKIP_1) | instid1(SALU_CYCLE_2)
	s_cvt_u32_f32 s3, s3
	s_wait_alu 0xfffe
	s_mul_i32 s5, s5, s3
	s_wait_alu 0xfffe
	s_mul_hi_u32 s5, s3, s5
	s_wait_alu 0xfffe
	s_add_co_i32 s3, s3, s5
	s_wait_alu 0xfffe
	s_lshr_b32 s3, s3, 30
	s_wait_alu 0xfffe
	s_mul_i32 s3, s3, s2
	s_wait_alu 0xfffe
	s_sub_co_i32 s3, 4, s3
	s_wait_alu 0xfffe
	s_sub_co_i32 s5, s3, s2
	s_cmp_ge_u32 s3, s2
	s_wait_alu 0xfffe
	s_cselect_b32 s3, s5, s3
	s_wait_alu 0xfffe
	s_sub_co_i32 s5, s3, s2
	s_cmp_ge_u32 s3, s2
	s_wait_alu 0xfffe
	s_cselect_b32 s3, s5, s3
	s_wait_alu 0xfffe
	s_cmp_eq_u32 s3, 0
	s_cselect_b32 s2, -1, 0
	s_ashr_i32 s5, s4, 31
	s_wait_alu 0xfffe
	v_cndmask_b32_e64 v1, 0, 1, s2
	s_lshr_b32 s5, s5, 30
	s_mov_b32 s2, exec_lo
	s_wait_alu 0xfffe
	s_add_co_i32 s4, s4, s5
	s_wait_alu 0xfffe
	s_ashr_i32 s4, s4, 2
	s_wait_alu 0xfffe
	v_add_nc_u32_e32 v2, s4, v0
	s_delay_alu instid0(VALU_DEP_1)
	v_cmpx_ge_i32_e64 v2, v1
	s_xor_b32 s2, exec_lo, s2
	s_cbranch_execnz .LBB1_6
; %bb.3:
	s_wait_alu 0xfffe
	s_and_not1_saveexec_b32 s1, s2
	s_cbranch_execnz .LBB1_8
.LBB1_4:
	s_wait_alu 0xfffe
	s_or_b32 exec_lo, exec_lo, s1
	s_and_saveexec_b32 s1, s0
	s_cbranch_execnz .LBB1_9
.LBB1_5:
	s_endpgm
.LBB1_6:
	s_sub_co_i32 s0, 4, s3
	s_delay_alu instid0(SALU_CYCLE_1) | instskip(NEXT) | instid1(VALU_DEP_1)
	v_add_nc_u32_e32 v0, s0, v0
	v_max_i32_e32 v0, s0, v0
	s_mov_b32 s0, 0
	s_delay_alu instid0(VALU_DEP_1)
	v_cmp_gt_i32_e32 vcc_lo, s1, v0
	s_and_saveexec_b32 s1, vcc_lo
	s_cbranch_execnz .LBB1_10
.LBB1_7:
	s_wait_alu 0xfffe
	s_or_b32 exec_lo, exec_lo, s1
	s_delay_alu instid0(SALU_CYCLE_1)
	s_and_b32 s0, s0, exec_lo
	s_and_not1_saveexec_b32 s1, s2
	s_cbranch_execz .LBB1_4
.LBB1_8:
	s_wait_alu 0xfffe
	s_or_b32 s0, s0, exec_lo
	s_trap 2
	s_or_b32 exec_lo, exec_lo, s1
	s_wait_alu 0xfffe
	s_and_saveexec_b32 s1, s0
	s_cbranch_execz .LBB1_5
.LBB1_9:
	; divergent unreachable
	s_endpgm
.LBB1_10:
	s_mov_b32 s0, exec_lo
	s_trap 2
	s_branch .LBB1_7
	.section	.rodata,"a",@progbits
	.p2align	6, 0x0
	.amdhsa_kernel _ZN4vllm24act_and_mul_quant_kernelIfTnPFT_RKS1_EXadL_ZNS_11silu_kernelIfEES1_S3_EEN3c1015Float8_e4m3fnuzEEEvPT1_PS2_PKfi
		.amdhsa_group_segment_fixed_size 0
		.amdhsa_private_segment_fixed_size 0
		.amdhsa_kernarg_size 288
		.amdhsa_user_sgpr_count 2
		.amdhsa_user_sgpr_dispatch_ptr 0
		.amdhsa_user_sgpr_queue_ptr 0
		.amdhsa_user_sgpr_kernarg_segment_ptr 1
		.amdhsa_user_sgpr_dispatch_id 0
		.amdhsa_user_sgpr_private_segment_size 0
		.amdhsa_wavefront_size32 1
		.amdhsa_uses_dynamic_stack 0
		.amdhsa_enable_private_segment 0
		.amdhsa_system_sgpr_workgroup_id_x 1
		.amdhsa_system_sgpr_workgroup_id_y 1
		.amdhsa_system_sgpr_workgroup_id_z 0
		.amdhsa_system_sgpr_workgroup_info 0
		.amdhsa_system_vgpr_workitem_id 0
		.amdhsa_next_free_vgpr 3
		.amdhsa_next_free_sgpr 7
		.amdhsa_reserve_vcc 1
		.amdhsa_float_round_mode_32 0
		.amdhsa_float_round_mode_16_64 0
		.amdhsa_float_denorm_mode_32 3
		.amdhsa_float_denorm_mode_16_64 3
		.amdhsa_fp16_overflow 0
		.amdhsa_workgroup_processor_mode 1
		.amdhsa_memory_ordered 1
		.amdhsa_forward_progress 1
		.amdhsa_inst_pref_size 5
		.amdhsa_round_robin_scheduling 0
		.amdhsa_exception_fp_ieee_invalid_op 0
		.amdhsa_exception_fp_denorm_src 0
		.amdhsa_exception_fp_ieee_div_zero 0
		.amdhsa_exception_fp_ieee_overflow 0
		.amdhsa_exception_fp_ieee_underflow 0
		.amdhsa_exception_fp_ieee_inexact 0
		.amdhsa_exception_int_div_zero 0
	.end_amdhsa_kernel
	.section	.text._ZN4vllm24act_and_mul_quant_kernelIfTnPFT_RKS1_EXadL_ZNS_11silu_kernelIfEES1_S3_EEN3c1015Float8_e4m3fnuzEEEvPT1_PS2_PKfi,"axG",@progbits,_ZN4vllm24act_and_mul_quant_kernelIfTnPFT_RKS1_EXadL_ZNS_11silu_kernelIfEES1_S3_EEN3c1015Float8_e4m3fnuzEEEvPT1_PS2_PKfi,comdat
.Lfunc_end1:
	.size	_ZN4vllm24act_and_mul_quant_kernelIfTnPFT_RKS1_EXadL_ZNS_11silu_kernelIfEES1_S3_EEN3c1015Float8_e4m3fnuzEEEvPT1_PS2_PKfi, .Lfunc_end1-_ZN4vllm24act_and_mul_quant_kernelIfTnPFT_RKS1_EXadL_ZNS_11silu_kernelIfEES1_S3_EEN3c1015Float8_e4m3fnuzEEEvPT1_PS2_PKfi
                                        ; -- End function
	.set _ZN4vllm24act_and_mul_quant_kernelIfTnPFT_RKS1_EXadL_ZNS_11silu_kernelIfEES1_S3_EEN3c1015Float8_e4m3fnuzEEEvPT1_PS2_PKfi.num_vgpr, 3
	.set _ZN4vllm24act_and_mul_quant_kernelIfTnPFT_RKS1_EXadL_ZNS_11silu_kernelIfEES1_S3_EEN3c1015Float8_e4m3fnuzEEEvPT1_PS2_PKfi.num_agpr, 0
	.set _ZN4vllm24act_and_mul_quant_kernelIfTnPFT_RKS1_EXadL_ZNS_11silu_kernelIfEES1_S3_EEN3c1015Float8_e4m3fnuzEEEvPT1_PS2_PKfi.numbered_sgpr, 7
	.set _ZN4vllm24act_and_mul_quant_kernelIfTnPFT_RKS1_EXadL_ZNS_11silu_kernelIfEES1_S3_EEN3c1015Float8_e4m3fnuzEEEvPT1_PS2_PKfi.num_named_barrier, 0
	.set _ZN4vllm24act_and_mul_quant_kernelIfTnPFT_RKS1_EXadL_ZNS_11silu_kernelIfEES1_S3_EEN3c1015Float8_e4m3fnuzEEEvPT1_PS2_PKfi.private_seg_size, 0
	.set _ZN4vllm24act_and_mul_quant_kernelIfTnPFT_RKS1_EXadL_ZNS_11silu_kernelIfEES1_S3_EEN3c1015Float8_e4m3fnuzEEEvPT1_PS2_PKfi.uses_vcc, 1
	.set _ZN4vllm24act_and_mul_quant_kernelIfTnPFT_RKS1_EXadL_ZNS_11silu_kernelIfEES1_S3_EEN3c1015Float8_e4m3fnuzEEEvPT1_PS2_PKfi.uses_flat_scratch, 0
	.set _ZN4vllm24act_and_mul_quant_kernelIfTnPFT_RKS1_EXadL_ZNS_11silu_kernelIfEES1_S3_EEN3c1015Float8_e4m3fnuzEEEvPT1_PS2_PKfi.has_dyn_sized_stack, 0
	.set _ZN4vllm24act_and_mul_quant_kernelIfTnPFT_RKS1_EXadL_ZNS_11silu_kernelIfEES1_S3_EEN3c1015Float8_e4m3fnuzEEEvPT1_PS2_PKfi.has_recursion, 0
	.set _ZN4vllm24act_and_mul_quant_kernelIfTnPFT_RKS1_EXadL_ZNS_11silu_kernelIfEES1_S3_EEN3c1015Float8_e4m3fnuzEEEvPT1_PS2_PKfi.has_indirect_call, 0
	.section	.AMDGPU.csdata,"",@progbits
; Kernel info:
; codeLenInByte = 604
; TotalNumSgprs: 9
; NumVgprs: 3
; ScratchSize: 0
; MemoryBound: 0
; FloatMode: 240
; IeeeMode: 1
; LDSByteSize: 0 bytes/workgroup (compile time only)
; SGPRBlocks: 0
; VGPRBlocks: 0
; NumSGPRsForWavesPerEU: 9
; NumVGPRsForWavesPerEU: 3
; Occupancy: 16
; WaveLimiterHint : 0
; COMPUTE_PGM_RSRC2:SCRATCH_EN: 0
; COMPUTE_PGM_RSRC2:USER_SGPR: 2
; COMPUTE_PGM_RSRC2:TRAP_HANDLER: 0
; COMPUTE_PGM_RSRC2:TGID_X_EN: 1
; COMPUTE_PGM_RSRC2:TGID_Y_EN: 1
; COMPUTE_PGM_RSRC2:TGID_Z_EN: 0
; COMPUTE_PGM_RSRC2:TIDIG_COMP_CNT: 0
	.section	.text._ZN4vllm24act_and_mul_quant_kernelIN3c104HalfETnPFT_RKS3_EXadL_ZNS_11silu_kernelIS2_EES3_S5_EENS1_13Float8_e4m3fnEEEvPT1_PS4_PKfi,"axG",@progbits,_ZN4vllm24act_and_mul_quant_kernelIN3c104HalfETnPFT_RKS3_EXadL_ZNS_11silu_kernelIS2_EES3_S5_EENS1_13Float8_e4m3fnEEEvPT1_PS4_PKfi,comdat
	.protected	_ZN4vllm24act_and_mul_quant_kernelIN3c104HalfETnPFT_RKS3_EXadL_ZNS_11silu_kernelIS2_EES3_S5_EENS1_13Float8_e4m3fnEEEvPT1_PS4_PKfi ; -- Begin function _ZN4vllm24act_and_mul_quant_kernelIN3c104HalfETnPFT_RKS3_EXadL_ZNS_11silu_kernelIS2_EES3_S5_EENS1_13Float8_e4m3fnEEEvPT1_PS4_PKfi
	.globl	_ZN4vllm24act_and_mul_quant_kernelIN3c104HalfETnPFT_RKS3_EXadL_ZNS_11silu_kernelIS2_EES3_S5_EENS1_13Float8_e4m3fnEEEvPT1_PS4_PKfi
	.p2align	8
	.type	_ZN4vllm24act_and_mul_quant_kernelIN3c104HalfETnPFT_RKS3_EXadL_ZNS_11silu_kernelIS2_EES3_S5_EENS1_13Float8_e4m3fnEEEvPT1_PS4_PKfi,@function
_ZN4vllm24act_and_mul_quant_kernelIN3c104HalfETnPFT_RKS3_EXadL_ZNS_11silu_kernelIS2_EES3_S5_EENS1_13Float8_e4m3fnEEEvPT1_PS4_PKfi: ; @_ZN4vllm24act_and_mul_quant_kernelIN3c104HalfETnPFT_RKS3_EXadL_ZNS_11silu_kernelIS2_EES3_S5_EENS1_13Float8_e4m3fnEEEvPT1_PS4_PKfi
; %bb.0:
	s_clause 0x2
	s_load_b32 s2, s[0:1], 0x24
	s_load_b32 s10, s[0:1], 0x18
	s_load_b64 s[14:15], s[0:1], 0x8
	s_mov_b32 s12, ttmp9
	s_mov_b32 s13, 0
	s_wait_kmcnt 0x0
	s_abs_i32 s3, s2
	s_add_co_i32 s6, s10, s2
	s_cvt_f32_u32 s4, s3
	s_sub_co_i32 s5, 0, s3
	s_add_co_i32 s6, s6, -1
	s_delay_alu instid0(SALU_CYCLE_1) | instskip(SKIP_2) | instid1(SALU_CYCLE_1)
	s_abs_i32 s7, s6
	v_rcp_iflag_f32_e32 v1, s4
	s_xor_b32 s2, s6, s2
	s_ashr_i32 s2, s2, 31
	s_delay_alu instid0(TRANS32_DEP_1) | instskip(SKIP_2) | instid1(SALU_CYCLE_2)
	v_readfirstlane_b32 s4, v1
	s_mul_f32 s4, s4, 0x4f7ffffe
	s_wait_alu 0xfffe
	s_cvt_u32_f32 s4, s4
	s_wait_alu 0xfffe
	s_delay_alu instid0(SALU_CYCLE_2)
	s_mul_i32 s5, s5, s4
	s_wait_alu 0xfffe
	s_mul_hi_u32 s5, s4, s5
	s_wait_alu 0xfffe
	s_add_co_i32 s4, s4, s5
	s_wait_alu 0xfffe
	s_mul_hi_u32 s4, s7, s4
	s_wait_alu 0xfffe
	s_mul_i32 s5, s4, s3
	s_add_co_i32 s6, s4, 1
	s_wait_alu 0xfffe
	s_sub_co_i32 s5, s7, s5
	s_wait_alu 0xfffe
	s_sub_co_i32 s7, s5, s3
	s_cmp_ge_u32 s5, s3
	s_cselect_b32 s4, s6, s4
	s_cselect_b32 s5, s7, s5
	s_wait_alu 0xfffe
	s_add_co_i32 s6, s4, 1
	s_cmp_ge_u32 s5, s3
	s_cselect_b32 s3, s6, s4
	s_delay_alu instid0(SALU_CYCLE_1) | instskip(NEXT) | instid1(SALU_CYCLE_1)
	s_xor_b32 s3, s3, s2
	s_sub_co_i32 s2, s3, s2
	s_delay_alu instid0(SALU_CYCLE_1) | instskip(NEXT) | instid1(SALU_CYCLE_1)
	s_and_b32 s3, s2, 7
	s_cmp_eq_u32 s3, 0
	s_cbranch_scc1 .LBB2_2
; %bb.1:
	s_ashr_i32 s3, s2, 31
	s_delay_alu instid0(SALU_CYCLE_1) | instskip(NEXT) | instid1(SALU_CYCLE_1)
	s_lshr_b32 s3, s3, 29
	s_add_co_i32 s2, s2, s3
	s_delay_alu instid0(SALU_CYCLE_1) | instskip(NEXT) | instid1(SALU_CYCLE_1)
	s_and_b32 s2, s2, -8
	s_add_co_i32 s2, s2, 8
.LBB2_2:
	s_delay_alu instid0(SALU_CYCLE_1)
	s_mul_i32 s3, s2, ttmp7
	s_clause 0x1
	s_load_b64 s[4:5], s[0:1], 0x10
	s_load_b64 s[18:19], s[0:1], 0x0
	s_add_co_i32 s2, s3, s2
	s_ashr_i32 s11, s10, 31
	s_min_i32 s8, s2, s10
	s_add_nc_u64 s[20:21], s[0:1], 32
	s_abs_i32 s2, s8
	s_mul_u64 s[16:17], s[10:11], s[12:13]
	s_cvt_f32_u32 s6, s2
	s_mov_b32 s26, exec_lo
	s_delay_alu instid0(SALU_CYCLE_2) | instskip(SKIP_3) | instid1(TRANS32_DEP_1)
	v_rcp_iflag_f32_e32 v1, s6
	s_sub_co_i32 s6, 0, s2
	s_wait_kmcnt 0x0
	s_load_b32 s4, s[4:5], 0x0
	v_readfirstlane_b32 s5, v1
	s_mul_f32 s5, s5, 0x4f7ffffe
	s_wait_alu 0xfffe
	s_delay_alu instid0(SALU_CYCLE_2) | instskip(SKIP_1) | instid1(SALU_CYCLE_2)
	s_cvt_u32_f32 s5, s5
	s_wait_alu 0xfffe
	s_mul_i32 s6, s6, s5
	s_wait_alu 0xfffe
	s_mul_hi_u32 s6, s5, s6
	s_wait_alu 0xfffe
	s_add_co_i32 s5, s5, s6
	s_wait_kmcnt 0x0
	v_div_scale_f32 v1, null, s4, s4, 1.0
	s_wait_alu 0xfffe
	s_lshr_b32 s5, s5, 29
	v_div_scale_f32 v4, vcc_lo, 1.0, s4, 1.0
	s_wait_alu 0xfffe
	s_mul_i32 s5, s5, s2
	v_rcp_f32_e32 v2, v1
	s_wait_alu 0xfffe
	s_sub_co_i32 s5, 8, s5
	v_xor_b32_e32 v1, 0x80000000, v1
	s_wait_alu 0xfffe
	s_sub_co_i32 s6, s5, s2
	s_cmp_ge_u32 s5, s2
	s_wait_alu 0xfffe
	s_cselect_b32 s5, s6, s5
	s_wait_alu 0xfffe
	s_sub_co_i32 s6, s5, s2
	s_cmp_ge_u32 s5, s2
	v_fma_f32 v3, v1, v2, 1.0
	s_wait_alu 0xfffe
	s_cselect_b32 s9, s6, s5
	s_delay_alu instid0(SALU_CYCLE_1)
	s_cmp_eq_u32 s9, 0
	s_cselect_b32 s2, -1, 0
	s_ashr_i32 s5, s3, 31
	v_cndmask_b32_e64 v12, 0, 1, s2
	s_wait_alu 0xfffe
	s_lshr_b32 s5, s5, 29
	s_wait_alu 0xfffe
	s_add_co_i32 s3, s3, s5
	s_wait_alu 0xfffe
	s_ashr_i32 s2, s3, 3
	s_wait_alu 0xfffe
	v_dual_fmac_f32 v2, v3, v2 :: v_dual_add_nc_u32 v13, s2, v0
	s_delay_alu instid0(VALU_DEP_1) | instskip(NEXT) | instid1(VALU_DEP_1)
	v_mul_f32_e32 v3, v4, v2
	v_fma_f32 v5, v1, v3, v4
	s_delay_alu instid0(VALU_DEP_1) | instskip(NEXT) | instid1(VALU_DEP_1)
	v_fmac_f32_e32 v3, v5, v2
	v_fmac_f32_e32 v4, v1, v3
	s_delay_alu instid0(VALU_DEP_1) | instskip(NEXT) | instid1(VALU_DEP_1)
	v_div_fmas_f32 v1, v4, v2, v3
	v_div_fixup_f32 v11, v1, s4, 1.0
	v_cmpx_lt_i32_e64 v13, v12
	s_cbranch_execz .LBB2_5
; %bb.3:
	s_load_b32 s4, s[20:21], 0xc
	s_ashr_i32 s0, s2, 31
	v_add_co_u32 v1, s1, s2, v0
	s_delay_alu instid0(VALU_DEP_1)
	v_add_co_ci_u32_e64 v2, null, s0, 0, s1
	s_add_nc_u64 s[2:3], s[18:19], s[16:17]
	s_lshl_b64 s[0:1], s[12:13], 2
	s_lshl_b64 s[22:23], s[16:17], 2
	v_lshlrev_b64_e32 v[3:4], 4, v[1:2]
	v_lshlrev_b64_e32 v[1:2], 3, v[1:2]
	s_wait_alu 0xfffe
	s_or_b32 s0, s0, 2
	s_mov_b32 s27, 0
	s_wait_alu 0xfffe
	s_mul_u64 s[24:25], s[0:1], s[10:11]
	s_mov_b32 s31, 0x3fb8aa3b
	v_add_co_u32 v14, vcc_lo, s14, v3
	s_wait_alu 0xfffd
	v_add_co_ci_u32_e64 v15, null, s15, v4, vcc_lo
	v_add_co_u32 v9, vcc_lo, s2, v1
	s_wait_alu 0xfffd
	v_add_co_ci_u32_e64 v10, null, s3, v2, vcc_lo
	s_wait_kmcnt 0x0
	s_and_b32 s28, s4, 0xffff
	s_mov_b32 s33, 0x32a5705f
	s_lshl_b32 s29, s28, 4
	s_lshl_b32 s30, s28, 3
	s_mov_b32 s34, 0x43e00000
.LBB2_4:                                ; =>This Inner Loop Header: Depth=1
	v_add_co_u32 v1, vcc_lo, v14, s22
	s_wait_alu 0xfffd
	v_add_co_ci_u32_e64 v2, null, s23, v15, vcc_lo
	v_add_co_u32 v3, vcc_lo, v14, s24
	s_wait_alu 0xfffd
	v_add_co_ci_u32_e64 v4, null, s25, v15, vcc_lo
	s_clause 0x1
	global_load_b128 v[5:8], v[1:2], off
	global_load_b128 v[1:4], v[3:4], off
	v_add_co_u32 v14, vcc_lo, v14, s29
	s_wait_alu 0xfffd
	v_add_co_ci_u32_e64 v15, null, 0, v15, vcc_lo
	v_dual_mov_b32 v16, 0 :: v_dual_mov_b32 v17, 0
	v_dual_mov_b32 v18, 0 :: v_dual_mov_b32 v19, 0
	;; [unrolled: 1-line block ×4, first 2 shown]
	s_wait_loadcnt 0x1
	v_cvt_f32_f16_e64 v25, -v5
	v_lshrrev_b32_e32 v30, 16, v6
	v_lshrrev_b32_e32 v26, 16, v5
	v_cvt_f32_f16_e64 v29, -v6
	v_lshrrev_b32_e32 v38, 16, v8
	v_cmp_ngt_f32_e64 s3, 0xc2ce8ed0, v25
	v_cvt_f32_f16_e32 v43, v30
	v_cvt_f32_f16_e64 v30, -v30
	v_mul_f32_e32 v40, 0x3fb8aa3b, v25
	v_cvt_f32_f16_e32 v41, v26
	v_cvt_f32_f16_e64 v26, -v26
	v_cvt_f32_f16_e32 v47, v38
	v_mul_f32_e32 v53, 0x3fb8aa3b, v30
	v_fma_mix_f32 v48, -v5, s31, -v40 op_sel_hi:[1,0,0]
	v_rndne_f32_e32 v49, v40
	v_cvt_f32_f16_e64 v38, -v38
	v_mul_f32_e32 v42, 0x3fb8aa3b, v29
	v_dual_mul_f32 v50, 0x3fb8aa3b, v26 :: v_dual_add_nc_u32 v13, s28, v13
	v_fma_mix_f32 v48, -v5, s33, v48 op_sel_hi:[1,0,0]
	v_sub_f32_e32 v40, v40, v49
	v_cvt_i32_f32_e32 v49, v49
	v_mul_f32_e32 v59, 0x3fb8aa3b, v38
	v_fma_mix_f32 v51, -v6, s31, -v42 op_sel_hi:[1,0,0]
	v_rndne_f32_e32 v52, v42
	v_add_f32_e32 v40, v40, v48
	v_cmp_nlt_f32_e64 s7, 0x42b17218, v25
	v_cvt_f32_f16_e64 v33, -v7
	v_lshrrev_b32_e32 v34, 16, v7
	v_fma_mix_f32 v60, -v5, s31, -v50 op_sel:[1,0,0] op_sel_hi:[1,0,0]
	v_exp_f32_e32 v40, v40
	v_rndne_f32_e32 v61, v50
	v_fma_mix_f32 v51, -v6, s33, v51 op_sel_hi:[1,0,0]
	v_fma_mix_f32 v62, -v6, s31, -v53 op_sel:[1,0,0] op_sel_hi:[1,0,0]
	v_rndne_f32_e32 v63, v53
	v_cvt_f32_f16_e32 v24, v5
	v_cvt_f32_f16_e32 v28, v6
	v_mul_f32_e32 v44, 0x3fb8aa3b, v33
	v_cvt_f32_f16_e32 v45, v34
	v_cvt_f32_f16_e64 v34, -v34
	v_ldexp_f32 v40, v40, v49
	v_fma_mix_f32 v5, -v5, s33, v60 op_sel:[1,0,0] op_sel_hi:[1,0,0]
	v_sub_f32_e32 v48, v50, v61
	v_fma_mix_f32 v6, -v6, s33, v62 op_sel:[1,0,0] op_sel_hi:[1,0,0]
	v_mul_f32_e32 v56, 0x3fb8aa3b, v34
	s_wait_alu 0xf1ff
	v_cndmask_b32_e64 v40, 0, v40, s3
	v_cvt_i32_f32_e32 v50, v61
	v_add_f32_e32 v5, v48, v5
	v_cmp_ngt_f32_e32 vcc_lo, 0xc2ce8ed0, v29
	v_cmp_ngt_f32_e64 s3, 0xc2ce8ed0, v26
	v_cndmask_b32_e64 v25, 0x7f800000, v40, s7
	v_sub_f32_e32 v42, v42, v52
	v_cvt_i32_f32_e32 v52, v52
	v_exp_f32_e32 v5, v5
	v_cmp_ngt_f32_e64 s4, 0xc2ce8ed0, v30
	s_delay_alu instid0(VALU_DEP_3)
	v_dual_add_f32 v25, 1.0, v25 :: v_dual_add_f32 v42, v42, v51
	v_sub_f32_e32 v51, v53, v63
	v_cvt_i32_f32_e32 v53, v63
	v_cvt_f32_f16_e64 v37, -v8
	v_rndne_f32_e32 v67, v59
	v_exp_f32_e32 v42, v42
	v_add_f32_e32 v6, v51, v6
	s_delay_alu instid0(TRANS32_DEP_2)
	v_ldexp_f32 v5, v5, v50
	v_mul_f32_e32 v46, 0x3fb8aa3b, v37
	v_fma_mix_f32 v54, -v7, s31, -v44 op_sel_hi:[1,0,0]
	v_rndne_f32_e32 v55, v44
	v_exp_f32_e32 v6, v6
	s_wait_alu 0xf1ff
	v_cndmask_b32_e64 v5, 0, v5, s3
	v_cmp_nlt_f32_e64 s3, 0x42b17218, v26
	v_fma_mix_f32 v57, -v8, s31, -v46 op_sel_hi:[1,0,0]
	v_ldexp_f32 v42, v42, v52
	v_rndne_f32_e32 v58, v46
	v_fma_mix_f32 v54, -v7, s33, v54 op_sel_hi:[1,0,0]
	v_sub_f32_e32 v44, v44, v55
	v_fma_mix_f32 v57, -v8, s33, v57 op_sel_hi:[1,0,0]
	s_wait_alu 0xfffd
	v_cndmask_b32_e32 v42, 0, v42, vcc_lo
	v_cmp_nlt_f32_e32 vcc_lo, 0x42b17218, v29
	v_ldexp_f32 v6, v6, v53
	v_fma_mix_f32 v66, -v8, s31, -v59 op_sel:[1,0,0] op_sel_hi:[1,0,0]
	s_wait_alu 0xf1ff
	v_cndmask_b32_e64 v5, 0x7f800000, v5, s3
	v_sub_f32_e32 v46, v46, v58
	s_wait_alu 0xfffd
	v_cndmask_b32_e32 v26, 0x7f800000, v42, vcc_lo
	v_cndmask_b32_e64 v6, 0, v6, s4
	v_cmp_nlt_f32_e32 vcc_lo, 0x42b17218, v30
	v_cvt_f32_f16_e32 v36, v8
	v_fma_mix_f32 v8, -v8, s33, v66 op_sel:[1,0,0] op_sel_hi:[1,0,0]
	v_add_f32_e32 v5, 1.0, v5
	v_add_f32_e32 v46, v46, v57
	s_wait_alu 0xfffd
	v_dual_cndmask_b32 v6, 0x7f800000, v6 :: v_dual_sub_f32 v57, v59, v67
	v_cvt_i32_f32_e32 v55, v55
	v_cvt_i32_f32_e32 v58, v58
	v_exp_f32_e32 v46, v46
	s_delay_alu instid0(VALU_DEP_3)
	v_add_f32_e32 v6, 1.0, v6
	v_add_f32_e32 v8, v57, v8
	v_cvt_i32_f32_e32 v59, v67
	v_cmp_ngt_f32_e64 s1, 0xc2ce8ed0, v33
	v_cmp_ngt_f32_e64 s2, 0xc2ce8ed0, v37
	v_div_scale_f32 v52, null, v6, v6, v43
	v_exp_f32_e32 v8, v8
	v_cmp_ngt_f32_e64 s6, 0xc2ce8ed0, v38
	s_delay_alu instid0(TRANS32_DEP_2) | instskip(NEXT) | instid1(VALU_DEP_3)
	v_ldexp_f32 v46, v46, v58
	v_rcp_f32_e32 v61, v52
	v_add_f32_e32 v44, v44, v54
	v_fma_mix_f32 v64, -v7, s31, -v56 op_sel:[1,0,0] op_sel_hi:[1,0,0]
	v_rndne_f32_e32 v65, v56
	v_cvt_f32_f16_e32 v32, v7
	v_cmp_ngt_f32_e64 s5, 0xc2ce8ed0, v34
	v_exp_f32_e32 v44, v44
	v_ldexp_f32 v8, v8, v59
	v_fma_mix_f32 v7, -v7, s33, v64 op_sel:[1,0,0] op_sel_hi:[1,0,0]
	v_div_scale_f32 v49, null, v5, v5, v41
	v_div_scale_f32 v50, s4, v41, v5, v41
	s_wait_alu 0xf1ff
	v_cndmask_b32_e64 v8, 0, v8, s6
	s_delay_alu instid0(VALU_DEP_3)
	v_rcp_f32_e32 v60, v49
	s_wait_loadcnt 0x0
	v_lshrrev_b32_e32 v27, 16, v1
	v_ldexp_f32 v44, v44, v55
	v_lshrrev_b32_e32 v35, 16, v3
	v_lshrrev_b32_e32 v31, 16, v2
	;; [unrolled: 1-line block ×3, first 2 shown]
	v_cmp_ge_i32_e64 s0, v13, v12
	v_cndmask_b32_e64 v29, 0, v44, s1
	v_cmp_nlt_f32_e64 s1, 0x42b17218, v33
	v_cndmask_b32_e64 v33, 0, v46, s2
	v_cmp_nlt_f32_e64 s2, 0x42b17218, v37
	s_or_b32 s27, s0, s27
	v_cndmask_b32_e64 v29, 0x7f800000, v29, s1
	v_cmp_nlt_f32_e64 s1, 0x42b17218, v34
	v_cndmask_b32_e64 v30, 0x7f800000, v33, s2
	v_cmp_nlt_f32_e64 s2, 0x42b17218, v38
	v_div_scale_f32 v33, null, v25, v25, v24
	s_delay_alu instid0(VALU_DEP_3) | instskip(SKIP_1) | instid1(VALU_DEP_3)
	v_dual_add_f32 v29, 1.0, v29 :: v_dual_add_f32 v30, 1.0, v30
	s_wait_alu 0xf1ff
	v_cndmask_b32_e64 v8, 0x7f800000, v8, s2
	s_delay_alu instid0(VALU_DEP_3) | instskip(SKIP_2) | instid1(VALU_DEP_3)
	v_rcp_f32_e32 v48, v33
	v_div_scale_f32 v34, vcc_lo, v24, v25, v24
	v_div_scale_f32 v44, null, v30, v30, v36
	v_add_f32_e32 v8, 1.0, v8
	v_div_scale_f32 v40, null, v29, v29, v32
	s_delay_alu instid0(VALU_DEP_3) | instskip(SKIP_1) | instid1(VALU_DEP_3)
	v_rcp_f32_e32 v57, v44
	v_div_scale_f32 v42, s2, v32, v29, v32
	v_div_scale_f32 v58, null, v8, v8, v47
	s_delay_alu instid0(TRANS32_DEP_2) | instskip(SKIP_1) | instid1(VALU_DEP_3)
	v_fma_f32 v64, -v33, v48, 1.0
	v_div_scale_f32 v59, s7, v47, v8, v47
	v_rcp_f32_e32 v63, v58
	v_div_scale_f32 v46, s3, v36, v30, v36
	s_delay_alu instid0(TRANS32_DEP_2) | instskip(SKIP_2) | instid1(VALU_DEP_3)
	v_fma_f32 v67, -v44, v57, 1.0
	v_fmac_f32_e32 v48, v64, v48
	v_fma_f32 v64, -v49, v60, 1.0
	v_fmac_f32_e32 v57, v67, v57
	s_delay_alu instid0(TRANS32_DEP_1) | instskip(SKIP_2) | instid1(VALU_DEP_3)
	v_fma_f32 v67, -v58, v63, 1.0
	v_sub_f32_e32 v54, v56, v65
	v_cvt_i32_f32_e32 v56, v65
	v_dual_fmac_f32 v60, v64, v60 :: v_dual_fmac_f32 v63, v67, v63
	s_delay_alu instid0(VALU_DEP_3) | instskip(SKIP_1) | instid1(VALU_DEP_2)
	v_add_f32_e32 v7, v54, v7
	v_rcp_f32_e32 v54, v40
	v_mul_f32_e32 v69, v50, v60
	s_delay_alu instid0(VALU_DEP_3) | instskip(NEXT) | instid1(VALU_DEP_3)
	v_mul_f32_e32 v75, v59, v63
	v_exp_f32_e32 v7, v7
	s_delay_alu instid0(TRANS32_DEP_2) | instskip(NEXT) | instid1(TRANS32_DEP_1)
	v_fma_f32 v66, -v40, v54, 1.0
	v_ldexp_f32 v7, v7, v56
	s_delay_alu instid0(VALU_DEP_2) | instskip(NEXT) | instid1(VALU_DEP_2)
	v_fmac_f32_e32 v54, v66, v54
	v_cndmask_b32_e64 v7, 0, v7, s5
	s_delay_alu instid0(VALU_DEP_1) | instskip(NEXT) | instid1(VALU_DEP_1)
	v_cndmask_b32_e64 v7, 0x7f800000, v7, s1
	v_add_f32_e32 v7, 1.0, v7
	s_delay_alu instid0(VALU_DEP_1) | instskip(SKIP_1) | instid1(VALU_DEP_2)
	v_div_scale_f32 v55, null, v7, v7, v45
	v_div_scale_f32 v56, s6, v45, v7, v45
	v_rcp_f32_e32 v62, v55
	s_delay_alu instid0(TRANS32_DEP_1) | instskip(NEXT) | instid1(VALU_DEP_1)
	v_fma_f32 v66, -v55, v62, 1.0
	v_fmac_f32_e32 v62, v66, v62
	s_delay_alu instid0(VALU_DEP_1) | instskip(NEXT) | instid1(VALU_DEP_1)
	v_dual_mul_f32 v73, v56, v62 :: v_dual_mul_f32 v68, v34, v48
	v_fma_f32 v67, -v33, v68, v34
	s_delay_alu instid0(VALU_DEP_1) | instskip(SKIP_2) | instid1(VALU_DEP_3)
	v_fmac_f32_e32 v68, v67, v48
	v_fma_f32 v67, -v49, v69, v50
	v_add_f32_e32 v26, 1.0, v26
	v_fma_f32 v33, -v33, v68, v34
	s_delay_alu instid0(VALU_DEP_3) | instskip(NEXT) | instid1(VALU_DEP_3)
	v_fmac_f32_e32 v69, v67, v60
	v_div_scale_f32 v37, null, v26, v26, v28
	v_div_scale_f32 v38, s1, v28, v26, v28
	s_wait_alu 0xfffd
	v_div_fmas_f32 v33, v33, v48, v68
	s_delay_alu instid0(VALU_DEP_3) | instskip(SKIP_1) | instid1(VALU_DEP_1)
	v_rcp_f32_e32 v51, v37
	s_mov_b32 vcc_lo, s4
	v_div_fixup_f32 v24, v33, v25, v24
	s_delay_alu instid0(VALU_DEP_1) | instskip(NEXT) | instid1(TRANS32_DEP_1)
	v_cvt_f16_f32_e32 v24, v24
	v_fma_f32 v65, -v37, v51, 1.0
	s_delay_alu instid0(VALU_DEP_2) | instskip(NEXT) | instid1(VALU_DEP_2)
	v_mul_f16_e32 v1, v1, v24
	v_fmac_f32_e32 v51, v65, v51
	v_fma_f32 v65, -v52, v61, 1.0
	s_delay_alu instid0(VALU_DEP_3) | instskip(NEXT) | instid1(VALU_DEP_2)
	v_cvt_f32_f16_e32 v1, v1
	v_fmac_f32_e32 v61, v65, v61
	v_mul_f32_e32 v65, v42, v54
	s_delay_alu instid0(VALU_DEP_3) | instskip(SKIP_1) | instid1(VALU_DEP_3)
	v_mul_f32_e32 v1, v11, v1
	v_div_scale_f32 v53, s5, v43, v6, v43
	v_fma_f32 v72, -v40, v65, v42
	s_delay_alu instid0(VALU_DEP_3) | instskip(NEXT) | instid1(VALU_DEP_3)
	v_minmax_num_f32 v1, v1, s34, 0xc3e00000
	v_dual_mul_f32 v64, v38, v51 :: v_dual_mul_f32 v71, v53, v61
	s_delay_alu instid0(VALU_DEP_3) | instskip(SKIP_1) | instid1(VALU_DEP_3)
	v_fmac_f32_e32 v65, v72, v54
	v_fma_f32 v72, -v55, v73, v56
	v_fma_f32 v70, -v37, v64, v38
	s_delay_alu instid0(VALU_DEP_1) | instskip(SKIP_1) | instid1(VALU_DEP_2)
	v_dual_fmac_f32 v73, v72, v62 :: v_dual_fmac_f32 v64, v70, v51
	v_fma_f32 v70, -v52, v71, v53
	v_fma_f32 v34, -v37, v64, v38
	s_delay_alu instid0(VALU_DEP_2) | instskip(SKIP_2) | instid1(VALU_DEP_3)
	v_fmac_f32_e32 v71, v70, v61
	v_fma_f32 v37, -v40, v65, v42
	v_fma_f32 v40, -v49, v69, v50
	;; [unrolled: 1-line block ×3, first 2 shown]
	s_wait_alu 0xfffe
	s_delay_alu instid0(VALU_DEP_2)
	v_div_fmas_f32 v25, v40, v60, v69
	s_mov_b32 vcc_lo, s1
	s_wait_alu 0xfffe
	v_div_fmas_f32 v33, v34, v51, v64
	s_mov_b32 vcc_lo, s5
	v_div_fixup_f32 v5, v25, v5, v41
	s_wait_alu 0xfffe
	v_div_fmas_f32 v34, v42, v61, v71
	s_mov_b32 vcc_lo, s2
	v_div_fixup_f32 v26, v33, v26, v28
	;; [unrolled: 4-line block ×3, first 2 shown]
	v_cvt_f16_f32_e32 v5, v5
	v_cvt_f16_f32_e32 v26, v26
	v_div_fixup_f32 v25, v25, v29, v32
	s_delay_alu instid0(VALU_DEP_4) | instskip(NEXT) | instid1(VALU_DEP_4)
	v_cvt_f16_f32_e32 v6, v6
	v_mul_f16_e32 v5, v27, v5
	s_delay_alu instid0(VALU_DEP_4) | instskip(NEXT) | instid1(VALU_DEP_4)
	v_mul_f16_e32 v2, v2, v26
	v_cvt_f16_f32_e32 v25, v25
	s_delay_alu instid0(VALU_DEP_4) | instskip(NEXT) | instid1(VALU_DEP_4)
	v_mul_f16_e32 v6, v31, v6
	v_cvt_f32_f16_e32 v5, v5
	s_delay_alu instid0(VALU_DEP_4) | instskip(NEXT) | instid1(VALU_DEP_4)
	v_cvt_f32_f16_e32 v2, v2
	v_mul_f16_e32 v3, v3, v25
	s_delay_alu instid0(VALU_DEP_4) | instskip(NEXT) | instid1(VALU_DEP_4)
	v_cvt_f32_f16_e32 v6, v6
	v_mul_f32_e32 v5, v11, v5
	s_delay_alu instid0(VALU_DEP_4) | instskip(NEXT) | instid1(VALU_DEP_4)
	v_mul_f32_e32 v2, v11, v2
	v_cvt_f32_f16_e32 v3, v3
	s_delay_alu instid0(VALU_DEP_4) | instskip(NEXT) | instid1(VALU_DEP_4)
	v_mul_f32_e32 v6, v11, v6
	v_minmax_num_f32 v5, v5, s34, 0xc3e00000
	s_delay_alu instid0(VALU_DEP_4) | instskip(NEXT) | instid1(VALU_DEP_4)
	v_minmax_num_f32 v2, v2, s34, 0xc3e00000
	v_mul_f32_e32 v3, v11, v3
	s_delay_alu instid0(VALU_DEP_4) | instskip(NEXT) | instid1(VALU_DEP_3)
	v_minmax_num_f32 v6, v6, s34, 0xc3e00000
	v_med3_num_f32 v25, v2, s34, 0xc3e00000
	s_delay_alu instid0(VALU_DEP_3) | instskip(SKIP_4) | instid1(VALU_DEP_4)
	v_minmax_num_f32 v3, v3, s34, 0xc3e00000
	v_mul_f32_e32 v66, v46, v57
	v_cmp_nlg_f32_e64 s1, 0x7f800000, |v2|
	v_med3_num_f32 v26, v6, s34, 0xc3e00000
	v_cmp_nlg_f32_e64 s2, 0x7f800000, |v6|
	v_fma_f32 v74, -v44, v66, v46
	s_wait_alu 0xf1ff
	v_cndmask_b32_e64 v2, v25, v2, s1
	s_delay_alu instid0(VALU_DEP_3) | instskip(NEXT) | instid1(VALU_DEP_3)
	v_cndmask_b32_e64 v6, v26, v6, s2
	v_fmac_f32_e32 v66, v74, v57
	v_fma_f32 v74, -v58, v75, v59
	s_delay_alu instid0(VALU_DEP_4) | instskip(NEXT) | instid1(VALU_DEP_4)
	v_cvt_pk_fp8_f32 v18, v2, v2
	v_cvt_pk_fp8_f32 v19, v6, v6
	s_delay_alu instid0(VALU_DEP_4) | instskip(SKIP_3) | instid1(VALU_DEP_2)
	v_fma_f32 v38, -v44, v66, v46
	v_fma_f32 v44, -v55, v73, v56
	v_fmac_f32_e32 v75, v74, v63
	s_wait_alu 0xfffe
	v_div_fmas_f32 v28, v44, v62, v73
	s_mov_b32 vcc_lo, s3
	s_delay_alu instid0(VALU_DEP_2)
	v_fma_f32 v46, -v58, v75, v59
	s_wait_alu 0xfffe
	v_div_fmas_f32 v24, v38, v57, v66
	s_mov_b32 vcc_lo, s7
	v_div_fixup_f32 v7, v28, v7, v45
	s_wait_alu 0xfffe
	v_div_fmas_f32 v29, v46, v63, v75
	v_div_fixup_f32 v24, v24, v30, v36
	v_cmp_nlg_f32_e64 vcc_lo, 0x7f800000, |v1|
	v_cvt_f16_f32_e32 v7, v7
	s_delay_alu instid0(VALU_DEP_4) | instskip(NEXT) | instid1(VALU_DEP_4)
	v_div_fixup_f32 v8, v29, v8, v47
	v_cvt_f16_f32_e32 v24, v24
	s_delay_alu instid0(VALU_DEP_3) | instskip(NEXT) | instid1(VALU_DEP_3)
	v_mul_f16_e32 v7, v35, v7
	v_cvt_f16_f32_e32 v8, v8
	s_delay_alu instid0(VALU_DEP_3) | instskip(SKIP_1) | instid1(VALU_DEP_4)
	v_mul_f16_e32 v4, v4, v24
	v_med3_num_f32 v24, v1, s34, 0xc3e00000
	v_cvt_f32_f16_e32 v7, v7
	s_delay_alu instid0(VALU_DEP_4) | instskip(NEXT) | instid1(VALU_DEP_4)
	v_mul_f16_e32 v8, v39, v8
	v_cvt_f32_f16_e32 v4, v4
	s_wait_alu 0xfffd
	v_cndmask_b32_e32 v1, v24, v1, vcc_lo
	v_mul_f32_e32 v7, v11, v7
	v_med3_num_f32 v24, v5, s34, 0xc3e00000
	v_cvt_f32_f16_e32 v8, v8
	v_cmp_nlg_f32_e64 vcc_lo, 0x7f800000, |v5|
	v_mul_f32_e32 v4, v11, v4
	v_minmax_num_f32 v7, v7, s34, 0xc3e00000
	v_cvt_pk_fp8_f32 v16, v1, v1
	s_wait_alu 0xfffd
	v_dual_mul_f32 v8, v11, v8 :: v_dual_cndmask_b32 v1, v24, v5
	v_minmax_num_f32 v4, v4, s34, 0xc3e00000
	v_med3_num_f32 v5, v3, s34, 0xc3e00000
	v_cmp_nlg_f32_e64 vcc_lo, 0x7f800000, |v3|
	s_delay_alu instid0(VALU_DEP_4)
	v_minmax_num_f32 v8, v8, s34, 0xc3e00000
	v_med3_num_f32 v24, v7, s34, 0xc3e00000
	v_cmp_nlg_f32_e64 s1, 0x7f800000, |v7|
	v_cvt_pk_fp8_f32 v17, v1, v1
	v_med3_num_f32 v1, v4, s34, 0xc3e00000
	v_cmp_nlg_f32_e64 s2, 0x7f800000, |v4|
	s_wait_alu 0xfffd
	v_cndmask_b32_e32 v3, v5, v3, vcc_lo
	v_med3_num_f32 v2, v8, s34, 0xc3e00000
	v_cmp_nlg_f32_e64 vcc_lo, 0x7f800000, |v8|
	s_wait_alu 0xf1ff
	v_cndmask_b32_e64 v5, v24, v7, s1
	v_cndmask_b32_e64 v1, v1, v4, s2
	v_lshlrev_b32_e32 v4, 8, v17
	v_cvt_pk_fp8_f32 v20, v3, v3
	s_wait_alu 0xfffd
	v_dual_cndmask_b32 v2, v2, v8 :: v_dual_lshlrev_b32 v3, 16, v18
	v_cvt_pk_fp8_f32 v21, v5, v5
	v_cvt_pk_fp8_f32 v22, v1, v1
	v_and_b32_e32 v16, 0xff, v16
	v_and_b32_e32 v1, 0xff00, v4
	v_cvt_pk_fp8_f32 v23, v2, v2
	v_perm_b32 v2, v19, v3, 0x4020c0c
	v_and_b32_e32 v3, 0xff, v21
	v_and_b32_e32 v5, 0xff, v22
	;; [unrolled: 1-line block ×3, first 2 shown]
	v_lshlrev_b32_e32 v6, 24, v23
	v_or3_b32 v1, v2, v1, v16
	v_lshlrev_b32_e32 v2, 8, v3
	v_lshlrev_b32_e32 v3, 16, v5
	s_delay_alu instid0(VALU_DEP_1) | instskip(NEXT) | instid1(VALU_DEP_1)
	v_or_b32_e32 v3, v6, v3
	v_or3_b32 v2, v3, v2, v4
	global_store_b64 v[9:10], v[1:2], off
	v_add_co_u32 v9, vcc_lo, v9, s30
	s_wait_alu 0xfffd
	v_add_co_ci_u32_e64 v10, null, 0, v10, vcc_lo
	s_and_not1_b32 exec_lo, exec_lo, s27
	s_cbranch_execnz .LBB2_4
.LBB2_5:
	s_or_b32 exec_lo, exec_lo, s26
	s_sub_co_i32 s0, 8, s9
	s_wait_alu 0xfffe
	s_cmp_gt_i32 s8, s0
	s_cbranch_scc0 .LBB2_9
; %bb.6:
	v_add_nc_u32_e32 v0, s0, v0
	s_mov_b32 s0, exec_lo
	s_delay_alu instid0(VALU_DEP_1)
	v_cmpx_gt_u32_e64 s8, v0
	s_cbranch_execz .LBB2_9
; %bb.7:
	s_load_b32 s0, s[20:21], 0xc
	v_dual_mov_b32 v1, 0 :: v_dual_lshlrev_b32 v2, 1, v0
	s_lshl_b64 s[6:7], s[12:13], 2
	s_mov_b32 s9, 0
	s_wait_alu 0xfffe
	s_or_b32 s6, s6, 2
	s_add_nc_u64 s[2:3], s[18:19], s[16:17]
	v_add_co_u32 v2, s14, s14, v2
	s_wait_alu 0xf1ff
	v_add_co_ci_u32_e64 v3, null, s15, 0, s14
	s_lshl_b64 s[4:5], s[16:17], 2
	s_mov_b32 s1, 0x3fb8aa3b
	s_mov_b32 s12, 0x32a5705f
	;; [unrolled: 1-line block ×3, first 2 shown]
	s_wait_alu 0xfffe
	s_mul_u64 s[6:7], s[6:7], s[10:11]
	s_mov_b32 s11, s9
	s_wait_kmcnt 0x0
	s_and_b32 s14, s0, 0xffff
	s_wait_alu 0xfffe
	s_lshl_b32 s10, s14, 1
.LBB2_8:                                ; =>This Inner Loop Header: Depth=1
	v_add_co_u32 v4, vcc_lo, v2, s4
	s_wait_alu 0xfffd
	v_add_co_ci_u32_e64 v5, null, s5, v3, vcc_lo
	global_load_u16 v6, v[4:5], off
	v_add_co_u32 v4, vcc_lo, v2, s6
	s_wait_alu 0xfffd
	v_add_co_ci_u32_e64 v5, null, s7, v3, vcc_lo
	v_add_co_u32 v2, s0, v2, s10
	s_wait_alu 0xf1ff
	v_add_co_ci_u32_e64 v3, null, 0, v3, s0
	global_load_u16 v4, v[4:5], off
	s_wait_loadcnt 0x1
	v_cvt_f32_f16_e64 v5, -v6
	s_delay_alu instid0(VALU_DEP_1) | instskip(SKIP_1) | instid1(VALU_DEP_2)
	v_mul_f32_e32 v7, 0x3fb8aa3b, v5
	v_cmp_ngt_f32_e32 vcc_lo, 0xc2ce8ed0, v5
	v_fma_mix_f32 v8, -v6, s1, -v7 op_sel_hi:[1,0,0]
	v_rndne_f32_e32 v9, v7
	s_delay_alu instid0(VALU_DEP_2) | instskip(NEXT) | instid1(VALU_DEP_2)
	v_fma_mix_f32 v8, -v6, s12, v8 op_sel_hi:[1,0,0]
	v_sub_f32_e32 v7, v7, v9
	v_cvt_f32_f16_e32 v6, v6
	s_delay_alu instid0(VALU_DEP_2) | instskip(SKIP_1) | instid1(VALU_DEP_2)
	v_add_f32_e32 v7, v7, v8
	v_cvt_i32_f32_e32 v8, v9
	v_exp_f32_e32 v7, v7
	s_delay_alu instid0(TRANS32_DEP_1) | instskip(SKIP_1) | instid1(VALU_DEP_1)
	v_ldexp_f32 v7, v7, v8
	s_wait_alu 0xfffd
	v_cndmask_b32_e32 v7, 0, v7, vcc_lo
	v_cmp_nlt_f32_e32 vcc_lo, 0x42b17218, v5
	s_wait_alu 0xfffd
	s_delay_alu instid0(VALU_DEP_2) | instskip(NEXT) | instid1(VALU_DEP_1)
	v_cndmask_b32_e32 v5, 0x7f800000, v7, vcc_lo
	v_add_f32_e32 v5, 1.0, v5
	s_delay_alu instid0(VALU_DEP_1) | instskip(SKIP_1) | instid1(VALU_DEP_2)
	v_div_scale_f32 v7, null, v5, v5, v6
	v_div_scale_f32 v10, vcc_lo, v6, v5, v6
	v_rcp_f32_e32 v8, v7
	s_delay_alu instid0(TRANS32_DEP_1) | instskip(NEXT) | instid1(VALU_DEP_1)
	v_fma_f32 v9, -v7, v8, 1.0
	v_fmac_f32_e32 v8, v9, v8
	s_delay_alu instid0(VALU_DEP_1) | instskip(NEXT) | instid1(VALU_DEP_1)
	v_mul_f32_e32 v9, v10, v8
	v_fma_f32 v12, -v7, v9, v10
	s_delay_alu instid0(VALU_DEP_1) | instskip(NEXT) | instid1(VALU_DEP_1)
	v_fmac_f32_e32 v9, v12, v8
	v_fma_f32 v7, -v7, v9, v10
	s_wait_alu 0xfffd
	s_delay_alu instid0(VALU_DEP_1) | instskip(SKIP_1) | instid1(VALU_DEP_2)
	v_div_fmas_f32 v7, v7, v8, v9
	v_mov_b32_e32 v8, 0
	v_div_fixup_f32 v5, v7, v5, v6
	s_delay_alu instid0(VALU_DEP_1) | instskip(SKIP_1) | instid1(VALU_DEP_1)
	v_cvt_f16_f32_e32 v5, v5
	s_wait_loadcnt 0x0
	v_mul_f16_e32 v4, v4, v5
	s_delay_alu instid0(VALU_DEP_1) | instskip(NEXT) | instid1(VALU_DEP_1)
	v_cvt_f32_f16_e32 v4, v4
	v_mul_f32_e32 v5, v11, v4
	v_add_co_u32 v4, vcc_lo, s2, v0
	s_delay_alu instid0(VALU_DEP_2) | instskip(SKIP_3) | instid1(VALU_DEP_3)
	v_minmax_num_f32 v6, v5, s13, 0xc3e00000
	s_wait_alu 0xfffd
	v_add_co_ci_u32_e64 v5, null, s3, v1, vcc_lo
	v_add_co_u32 v0, vcc_lo, v0, s14
	v_med3_num_f32 v7, v6, s13, 0xc3e00000
	s_wait_alu 0xfffd
	v_add_co_ci_u32_e64 v1, null, 0, v1, vcc_lo
	v_cmp_nlg_f32_e64 vcc_lo, 0x7f800000, |v6|
	s_wait_alu 0xfffd
	v_cndmask_b32_e32 v6, v7, v6, vcc_lo
	s_delay_alu instid0(VALU_DEP_3) | instskip(NEXT) | instid1(VALU_DEP_2)
	v_cmp_le_u64_e32 vcc_lo, s[8:9], v[0:1]
	v_cvt_pk_fp8_f32 v8, v6, v6
	s_or_b32 s11, vcc_lo, s11
	global_store_b8 v[4:5], v8, off
	s_wait_alu 0xfffe
	s_and_not1_b32 exec_lo, exec_lo, s11
	s_cbranch_execnz .LBB2_8
.LBB2_9:
	s_endpgm
	.section	.rodata,"a",@progbits
	.p2align	6, 0x0
	.amdhsa_kernel _ZN4vllm24act_and_mul_quant_kernelIN3c104HalfETnPFT_RKS3_EXadL_ZNS_11silu_kernelIS2_EES3_S5_EENS1_13Float8_e4m3fnEEEvPT1_PS4_PKfi
		.amdhsa_group_segment_fixed_size 0
		.amdhsa_private_segment_fixed_size 0
		.amdhsa_kernarg_size 288
		.amdhsa_user_sgpr_count 2
		.amdhsa_user_sgpr_dispatch_ptr 0
		.amdhsa_user_sgpr_queue_ptr 0
		.amdhsa_user_sgpr_kernarg_segment_ptr 1
		.amdhsa_user_sgpr_dispatch_id 0
		.amdhsa_user_sgpr_private_segment_size 0
		.amdhsa_wavefront_size32 1
		.amdhsa_uses_dynamic_stack 0
		.amdhsa_enable_private_segment 0
		.amdhsa_system_sgpr_workgroup_id_x 1
		.amdhsa_system_sgpr_workgroup_id_y 1
		.amdhsa_system_sgpr_workgroup_id_z 0
		.amdhsa_system_sgpr_workgroup_info 0
		.amdhsa_system_vgpr_workitem_id 0
		.amdhsa_next_free_vgpr 76
		.amdhsa_next_free_sgpr 35
		.amdhsa_reserve_vcc 1
		.amdhsa_float_round_mode_32 0
		.amdhsa_float_round_mode_16_64 0
		.amdhsa_float_denorm_mode_32 3
		.amdhsa_float_denorm_mode_16_64 3
		.amdhsa_fp16_overflow 0
		.amdhsa_workgroup_processor_mode 1
		.amdhsa_memory_ordered 1
		.amdhsa_forward_progress 1
		.amdhsa_inst_pref_size 32
		.amdhsa_round_robin_scheduling 0
		.amdhsa_exception_fp_ieee_invalid_op 0
		.amdhsa_exception_fp_denorm_src 0
		.amdhsa_exception_fp_ieee_div_zero 0
		.amdhsa_exception_fp_ieee_overflow 0
		.amdhsa_exception_fp_ieee_underflow 0
		.amdhsa_exception_fp_ieee_inexact 0
		.amdhsa_exception_int_div_zero 0
	.end_amdhsa_kernel
	.section	.text._ZN4vllm24act_and_mul_quant_kernelIN3c104HalfETnPFT_RKS3_EXadL_ZNS_11silu_kernelIS2_EES3_S5_EENS1_13Float8_e4m3fnEEEvPT1_PS4_PKfi,"axG",@progbits,_ZN4vllm24act_and_mul_quant_kernelIN3c104HalfETnPFT_RKS3_EXadL_ZNS_11silu_kernelIS2_EES3_S5_EENS1_13Float8_e4m3fnEEEvPT1_PS4_PKfi,comdat
.Lfunc_end2:
	.size	_ZN4vllm24act_and_mul_quant_kernelIN3c104HalfETnPFT_RKS3_EXadL_ZNS_11silu_kernelIS2_EES3_S5_EENS1_13Float8_e4m3fnEEEvPT1_PS4_PKfi, .Lfunc_end2-_ZN4vllm24act_and_mul_quant_kernelIN3c104HalfETnPFT_RKS3_EXadL_ZNS_11silu_kernelIS2_EES3_S5_EENS1_13Float8_e4m3fnEEEvPT1_PS4_PKfi
                                        ; -- End function
	.set _ZN4vllm24act_and_mul_quant_kernelIN3c104HalfETnPFT_RKS3_EXadL_ZNS_11silu_kernelIS2_EES3_S5_EENS1_13Float8_e4m3fnEEEvPT1_PS4_PKfi.num_vgpr, 76
	.set _ZN4vllm24act_and_mul_quant_kernelIN3c104HalfETnPFT_RKS3_EXadL_ZNS_11silu_kernelIS2_EES3_S5_EENS1_13Float8_e4m3fnEEEvPT1_PS4_PKfi.num_agpr, 0
	.set _ZN4vllm24act_and_mul_quant_kernelIN3c104HalfETnPFT_RKS3_EXadL_ZNS_11silu_kernelIS2_EES3_S5_EENS1_13Float8_e4m3fnEEEvPT1_PS4_PKfi.numbered_sgpr, 35
	.set _ZN4vllm24act_and_mul_quant_kernelIN3c104HalfETnPFT_RKS3_EXadL_ZNS_11silu_kernelIS2_EES3_S5_EENS1_13Float8_e4m3fnEEEvPT1_PS4_PKfi.num_named_barrier, 0
	.set _ZN4vllm24act_and_mul_quant_kernelIN3c104HalfETnPFT_RKS3_EXadL_ZNS_11silu_kernelIS2_EES3_S5_EENS1_13Float8_e4m3fnEEEvPT1_PS4_PKfi.private_seg_size, 0
	.set _ZN4vllm24act_and_mul_quant_kernelIN3c104HalfETnPFT_RKS3_EXadL_ZNS_11silu_kernelIS2_EES3_S5_EENS1_13Float8_e4m3fnEEEvPT1_PS4_PKfi.uses_vcc, 1
	.set _ZN4vllm24act_and_mul_quant_kernelIN3c104HalfETnPFT_RKS3_EXadL_ZNS_11silu_kernelIS2_EES3_S5_EENS1_13Float8_e4m3fnEEEvPT1_PS4_PKfi.uses_flat_scratch, 0
	.set _ZN4vllm24act_and_mul_quant_kernelIN3c104HalfETnPFT_RKS3_EXadL_ZNS_11silu_kernelIS2_EES3_S5_EENS1_13Float8_e4m3fnEEEvPT1_PS4_PKfi.has_dyn_sized_stack, 0
	.set _ZN4vllm24act_and_mul_quant_kernelIN3c104HalfETnPFT_RKS3_EXadL_ZNS_11silu_kernelIS2_EES3_S5_EENS1_13Float8_e4m3fnEEEvPT1_PS4_PKfi.has_recursion, 0
	.set _ZN4vllm24act_and_mul_quant_kernelIN3c104HalfETnPFT_RKS3_EXadL_ZNS_11silu_kernelIS2_EES3_S5_EENS1_13Float8_e4m3fnEEEvPT1_PS4_PKfi.has_indirect_call, 0
	.section	.AMDGPU.csdata,"",@progbits
; Kernel info:
; codeLenInByte = 4004
; TotalNumSgprs: 37
; NumVgprs: 76
; ScratchSize: 0
; MemoryBound: 0
; FloatMode: 240
; IeeeMode: 1
; LDSByteSize: 0 bytes/workgroup (compile time only)
; SGPRBlocks: 0
; VGPRBlocks: 9
; NumSGPRsForWavesPerEU: 37
; NumVGPRsForWavesPerEU: 76
; Occupancy: 16
; WaveLimiterHint : 0
; COMPUTE_PGM_RSRC2:SCRATCH_EN: 0
; COMPUTE_PGM_RSRC2:USER_SGPR: 2
; COMPUTE_PGM_RSRC2:TRAP_HANDLER: 0
; COMPUTE_PGM_RSRC2:TGID_X_EN: 1
; COMPUTE_PGM_RSRC2:TGID_Y_EN: 1
; COMPUTE_PGM_RSRC2:TGID_Z_EN: 0
; COMPUTE_PGM_RSRC2:TIDIG_COMP_CNT: 0
	.section	.text._ZN4vllm24act_and_mul_quant_kernelIN3c104HalfETnPFT_RKS3_EXadL_ZNS_11silu_kernelIS2_EES3_S5_EENS1_15Float8_e4m3fnuzEEEvPT1_PS4_PKfi,"axG",@progbits,_ZN4vllm24act_and_mul_quant_kernelIN3c104HalfETnPFT_RKS3_EXadL_ZNS_11silu_kernelIS2_EES3_S5_EENS1_15Float8_e4m3fnuzEEEvPT1_PS4_PKfi,comdat
	.protected	_ZN4vllm24act_and_mul_quant_kernelIN3c104HalfETnPFT_RKS3_EXadL_ZNS_11silu_kernelIS2_EES3_S5_EENS1_15Float8_e4m3fnuzEEEvPT1_PS4_PKfi ; -- Begin function _ZN4vllm24act_and_mul_quant_kernelIN3c104HalfETnPFT_RKS3_EXadL_ZNS_11silu_kernelIS2_EES3_S5_EENS1_15Float8_e4m3fnuzEEEvPT1_PS4_PKfi
	.globl	_ZN4vllm24act_and_mul_quant_kernelIN3c104HalfETnPFT_RKS3_EXadL_ZNS_11silu_kernelIS2_EES3_S5_EENS1_15Float8_e4m3fnuzEEEvPT1_PS4_PKfi
	.p2align	8
	.type	_ZN4vllm24act_and_mul_quant_kernelIN3c104HalfETnPFT_RKS3_EXadL_ZNS_11silu_kernelIS2_EES3_S5_EENS1_15Float8_e4m3fnuzEEEvPT1_PS4_PKfi,@function
_ZN4vllm24act_and_mul_quant_kernelIN3c104HalfETnPFT_RKS3_EXadL_ZNS_11silu_kernelIS2_EES3_S5_EENS1_15Float8_e4m3fnuzEEEvPT1_PS4_PKfi: ; @_ZN4vllm24act_and_mul_quant_kernelIN3c104HalfETnPFT_RKS3_EXadL_ZNS_11silu_kernelIS2_EES3_S5_EENS1_15Float8_e4m3fnuzEEEvPT1_PS4_PKfi
; %bb.0:
	s_clause 0x1
	s_load_b32 s2, s[0:1], 0x24
	s_load_b32 s1, s[0:1], 0x18
	s_wait_kmcnt 0x0
	s_abs_i32 s3, s2
	s_add_co_i32 s5, s1, s2
	s_cvt_f32_u32 s4, s3
	s_add_co_i32 s5, s5, -1
	s_delay_alu instid0(SALU_CYCLE_1) | instskip(NEXT) | instid1(SALU_CYCLE_1)
	s_abs_i32 s6, s5
	v_rcp_iflag_f32_e32 v1, s4
	s_sub_co_i32 s4, 0, s3
	s_xor_b32 s2, s5, s2
	s_delay_alu instid0(SALU_CYCLE_1) | instskip(NEXT) | instid1(TRANS32_DEP_1)
	s_ashr_i32 s2, s2, 31
	v_readfirstlane_b32 s0, v1
	s_mul_f32 s0, s0, 0x4f7ffffe
	s_delay_alu instid0(SALU_CYCLE_3) | instskip(SKIP_1) | instid1(SALU_CYCLE_2)
	s_cvt_u32_f32 s0, s0
	s_wait_alu 0xfffe
	s_mul_i32 s4, s4, s0
	s_wait_alu 0xfffe
	s_mul_hi_u32 s4, s0, s4
	s_wait_alu 0xfffe
	s_add_co_i32 s0, s0, s4
	s_delay_alu instid0(SALU_CYCLE_1) | instskip(NEXT) | instid1(SALU_CYCLE_1)
	s_mul_hi_u32 s0, s6, s0
	s_mul_i32 s4, s0, s3
	s_add_co_i32 s5, s0, 1
	s_wait_alu 0xfffe
	s_sub_co_i32 s4, s6, s4
	s_wait_alu 0xfffe
	s_sub_co_i32 s6, s4, s3
	s_cmp_ge_u32 s4, s3
	s_cselect_b32 s0, s5, s0
	s_cselect_b32 s4, s6, s4
	s_add_co_i32 s5, s0, 1
	s_wait_alu 0xfffe
	s_cmp_ge_u32 s4, s3
	s_cselect_b32 s0, s5, s0
	s_delay_alu instid0(SALU_CYCLE_1) | instskip(NEXT) | instid1(SALU_CYCLE_1)
	s_xor_b32 s0, s0, s2
	s_sub_co_i32 s2, s0, s2
	s_delay_alu instid0(SALU_CYCLE_1) | instskip(NEXT) | instid1(SALU_CYCLE_1)
	s_and_b32 s0, s2, 7
	s_cmp_eq_u32 s0, 0
	s_mov_b32 s0, 0
	s_cbranch_scc1 .LBB3_2
; %bb.1:
	s_ashr_i32 s3, s2, 31
	s_delay_alu instid0(SALU_CYCLE_1) | instskip(NEXT) | instid1(SALU_CYCLE_1)
	s_lshr_b32 s3, s3, 29
	s_add_co_i32 s2, s2, s3
	s_delay_alu instid0(SALU_CYCLE_1) | instskip(NEXT) | instid1(SALU_CYCLE_1)
	s_and_b32 s2, s2, -8
	s_add_co_i32 s2, s2, 8
.LBB3_2:
	s_delay_alu instid0(SALU_CYCLE_1) | instskip(SKIP_2) | instid1(SALU_CYCLE_1)
	s_mul_i32 s4, s2, ttmp7
	s_wait_alu 0xfffe
	s_add_co_i32 s2, s4, s2
	s_min_i32 s1, s2, s1
	s_delay_alu instid0(SALU_CYCLE_1) | instskip(NEXT) | instid1(SALU_CYCLE_1)
	s_abs_i32 s2, s1
	s_cvt_f32_u32 s3, s2
	s_sub_co_i32 s5, 0, s2
	s_delay_alu instid0(SALU_CYCLE_2) | instskip(NEXT) | instid1(TRANS32_DEP_1)
	v_rcp_iflag_f32_e32 v1, s3
	v_readfirstlane_b32 s3, v1
	s_mul_f32 s3, s3, 0x4f7ffffe
	s_wait_alu 0xfffe
	s_delay_alu instid0(SALU_CYCLE_2) | instskip(SKIP_1) | instid1(SALU_CYCLE_2)
	s_cvt_u32_f32 s3, s3
	s_wait_alu 0xfffe
	s_mul_i32 s5, s5, s3
	s_wait_alu 0xfffe
	s_mul_hi_u32 s5, s3, s5
	s_wait_alu 0xfffe
	s_add_co_i32 s3, s3, s5
	s_wait_alu 0xfffe
	s_lshr_b32 s3, s3, 29
	s_wait_alu 0xfffe
	s_mul_i32 s3, s3, s2
	s_wait_alu 0xfffe
	s_sub_co_i32 s3, 8, s3
	s_wait_alu 0xfffe
	s_sub_co_i32 s5, s3, s2
	s_cmp_ge_u32 s3, s2
	s_wait_alu 0xfffe
	s_cselect_b32 s3, s5, s3
	s_wait_alu 0xfffe
	s_sub_co_i32 s5, s3, s2
	s_cmp_ge_u32 s3, s2
	s_wait_alu 0xfffe
	s_cselect_b32 s3, s5, s3
	s_wait_alu 0xfffe
	s_cmp_eq_u32 s3, 0
	s_cselect_b32 s2, -1, 0
	s_ashr_i32 s5, s4, 31
	s_wait_alu 0xfffe
	v_cndmask_b32_e64 v1, 0, 1, s2
	s_lshr_b32 s5, s5, 29
	s_mov_b32 s2, exec_lo
	s_wait_alu 0xfffe
	s_add_co_i32 s4, s4, s5
	s_wait_alu 0xfffe
	s_ashr_i32 s4, s4, 3
	s_wait_alu 0xfffe
	v_add_nc_u32_e32 v2, s4, v0
	s_delay_alu instid0(VALU_DEP_1)
	v_cmpx_ge_i32_e64 v2, v1
	s_xor_b32 s2, exec_lo, s2
	s_cbranch_execnz .LBB3_6
; %bb.3:
	s_wait_alu 0xfffe
	s_and_not1_saveexec_b32 s1, s2
	s_cbranch_execnz .LBB3_8
.LBB3_4:
	s_wait_alu 0xfffe
	s_or_b32 exec_lo, exec_lo, s1
	s_and_saveexec_b32 s1, s0
	s_cbranch_execnz .LBB3_9
.LBB3_5:
	s_endpgm
.LBB3_6:
	s_sub_co_i32 s0, 8, s3
	s_delay_alu instid0(SALU_CYCLE_1) | instskip(NEXT) | instid1(VALU_DEP_1)
	v_add_nc_u32_e32 v0, s0, v0
	v_max_i32_e32 v0, s0, v0
	s_mov_b32 s0, 0
	s_delay_alu instid0(VALU_DEP_1)
	v_cmp_gt_i32_e32 vcc_lo, s1, v0
	s_and_saveexec_b32 s1, vcc_lo
	s_cbranch_execnz .LBB3_10
.LBB3_7:
	s_wait_alu 0xfffe
	s_or_b32 exec_lo, exec_lo, s1
	s_delay_alu instid0(SALU_CYCLE_1)
	s_and_b32 s0, s0, exec_lo
	s_and_not1_saveexec_b32 s1, s2
	s_cbranch_execz .LBB3_4
.LBB3_8:
	s_wait_alu 0xfffe
	s_or_b32 s0, s0, exec_lo
	s_trap 2
	s_or_b32 exec_lo, exec_lo, s1
	s_wait_alu 0xfffe
	s_and_saveexec_b32 s1, s0
	s_cbranch_execz .LBB3_5
.LBB3_9:
	; divergent unreachable
	s_endpgm
.LBB3_10:
	s_mov_b32 s0, exec_lo
	s_trap 2
	s_branch .LBB3_7
	.section	.rodata,"a",@progbits
	.p2align	6, 0x0
	.amdhsa_kernel _ZN4vllm24act_and_mul_quant_kernelIN3c104HalfETnPFT_RKS3_EXadL_ZNS_11silu_kernelIS2_EES3_S5_EENS1_15Float8_e4m3fnuzEEEvPT1_PS4_PKfi
		.amdhsa_group_segment_fixed_size 0
		.amdhsa_private_segment_fixed_size 0
		.amdhsa_kernarg_size 288
		.amdhsa_user_sgpr_count 2
		.amdhsa_user_sgpr_dispatch_ptr 0
		.amdhsa_user_sgpr_queue_ptr 0
		.amdhsa_user_sgpr_kernarg_segment_ptr 1
		.amdhsa_user_sgpr_dispatch_id 0
		.amdhsa_user_sgpr_private_segment_size 0
		.amdhsa_wavefront_size32 1
		.amdhsa_uses_dynamic_stack 0
		.amdhsa_enable_private_segment 0
		.amdhsa_system_sgpr_workgroup_id_x 1
		.amdhsa_system_sgpr_workgroup_id_y 1
		.amdhsa_system_sgpr_workgroup_id_z 0
		.amdhsa_system_sgpr_workgroup_info 0
		.amdhsa_system_vgpr_workitem_id 0
		.amdhsa_next_free_vgpr 3
		.amdhsa_next_free_sgpr 7
		.amdhsa_reserve_vcc 1
		.amdhsa_float_round_mode_32 0
		.amdhsa_float_round_mode_16_64 0
		.amdhsa_float_denorm_mode_32 3
		.amdhsa_float_denorm_mode_16_64 3
		.amdhsa_fp16_overflow 0
		.amdhsa_workgroup_processor_mode 1
		.amdhsa_memory_ordered 1
		.amdhsa_forward_progress 1
		.amdhsa_inst_pref_size 5
		.amdhsa_round_robin_scheduling 0
		.amdhsa_exception_fp_ieee_invalid_op 0
		.amdhsa_exception_fp_denorm_src 0
		.amdhsa_exception_fp_ieee_div_zero 0
		.amdhsa_exception_fp_ieee_overflow 0
		.amdhsa_exception_fp_ieee_underflow 0
		.amdhsa_exception_fp_ieee_inexact 0
		.amdhsa_exception_int_div_zero 0
	.end_amdhsa_kernel
	.section	.text._ZN4vllm24act_and_mul_quant_kernelIN3c104HalfETnPFT_RKS3_EXadL_ZNS_11silu_kernelIS2_EES3_S5_EENS1_15Float8_e4m3fnuzEEEvPT1_PS4_PKfi,"axG",@progbits,_ZN4vllm24act_and_mul_quant_kernelIN3c104HalfETnPFT_RKS3_EXadL_ZNS_11silu_kernelIS2_EES3_S5_EENS1_15Float8_e4m3fnuzEEEvPT1_PS4_PKfi,comdat
.Lfunc_end3:
	.size	_ZN4vllm24act_and_mul_quant_kernelIN3c104HalfETnPFT_RKS3_EXadL_ZNS_11silu_kernelIS2_EES3_S5_EENS1_15Float8_e4m3fnuzEEEvPT1_PS4_PKfi, .Lfunc_end3-_ZN4vllm24act_and_mul_quant_kernelIN3c104HalfETnPFT_RKS3_EXadL_ZNS_11silu_kernelIS2_EES3_S5_EENS1_15Float8_e4m3fnuzEEEvPT1_PS4_PKfi
                                        ; -- End function
	.set _ZN4vllm24act_and_mul_quant_kernelIN3c104HalfETnPFT_RKS3_EXadL_ZNS_11silu_kernelIS2_EES3_S5_EENS1_15Float8_e4m3fnuzEEEvPT1_PS4_PKfi.num_vgpr, 3
	.set _ZN4vllm24act_and_mul_quant_kernelIN3c104HalfETnPFT_RKS3_EXadL_ZNS_11silu_kernelIS2_EES3_S5_EENS1_15Float8_e4m3fnuzEEEvPT1_PS4_PKfi.num_agpr, 0
	.set _ZN4vllm24act_and_mul_quant_kernelIN3c104HalfETnPFT_RKS3_EXadL_ZNS_11silu_kernelIS2_EES3_S5_EENS1_15Float8_e4m3fnuzEEEvPT1_PS4_PKfi.numbered_sgpr, 7
	.set _ZN4vllm24act_and_mul_quant_kernelIN3c104HalfETnPFT_RKS3_EXadL_ZNS_11silu_kernelIS2_EES3_S5_EENS1_15Float8_e4m3fnuzEEEvPT1_PS4_PKfi.num_named_barrier, 0
	.set _ZN4vllm24act_and_mul_quant_kernelIN3c104HalfETnPFT_RKS3_EXadL_ZNS_11silu_kernelIS2_EES3_S5_EENS1_15Float8_e4m3fnuzEEEvPT1_PS4_PKfi.private_seg_size, 0
	.set _ZN4vllm24act_and_mul_quant_kernelIN3c104HalfETnPFT_RKS3_EXadL_ZNS_11silu_kernelIS2_EES3_S5_EENS1_15Float8_e4m3fnuzEEEvPT1_PS4_PKfi.uses_vcc, 1
	.set _ZN4vllm24act_and_mul_quant_kernelIN3c104HalfETnPFT_RKS3_EXadL_ZNS_11silu_kernelIS2_EES3_S5_EENS1_15Float8_e4m3fnuzEEEvPT1_PS4_PKfi.uses_flat_scratch, 0
	.set _ZN4vllm24act_and_mul_quant_kernelIN3c104HalfETnPFT_RKS3_EXadL_ZNS_11silu_kernelIS2_EES3_S5_EENS1_15Float8_e4m3fnuzEEEvPT1_PS4_PKfi.has_dyn_sized_stack, 0
	.set _ZN4vllm24act_and_mul_quant_kernelIN3c104HalfETnPFT_RKS3_EXadL_ZNS_11silu_kernelIS2_EES3_S5_EENS1_15Float8_e4m3fnuzEEEvPT1_PS4_PKfi.has_recursion, 0
	.set _ZN4vllm24act_and_mul_quant_kernelIN3c104HalfETnPFT_RKS3_EXadL_ZNS_11silu_kernelIS2_EES3_S5_EENS1_15Float8_e4m3fnuzEEEvPT1_PS4_PKfi.has_indirect_call, 0
	.section	.AMDGPU.csdata,"",@progbits
; Kernel info:
; codeLenInByte = 604
; TotalNumSgprs: 9
; NumVgprs: 3
; ScratchSize: 0
; MemoryBound: 0
; FloatMode: 240
; IeeeMode: 1
; LDSByteSize: 0 bytes/workgroup (compile time only)
; SGPRBlocks: 0
; VGPRBlocks: 0
; NumSGPRsForWavesPerEU: 9
; NumVGPRsForWavesPerEU: 3
; Occupancy: 16
; WaveLimiterHint : 0
; COMPUTE_PGM_RSRC2:SCRATCH_EN: 0
; COMPUTE_PGM_RSRC2:USER_SGPR: 2
; COMPUTE_PGM_RSRC2:TRAP_HANDLER: 0
; COMPUTE_PGM_RSRC2:TGID_X_EN: 1
; COMPUTE_PGM_RSRC2:TGID_Y_EN: 1
; COMPUTE_PGM_RSRC2:TGID_Z_EN: 0
; COMPUTE_PGM_RSRC2:TIDIG_COMP_CNT: 0
	.section	.text._ZN4vllm24act_and_mul_quant_kernelIN3c108BFloat16ETnPFT_RKS3_EXadL_ZNS_11silu_kernelIS2_EES3_S5_EENS1_13Float8_e4m3fnEEEvPT1_PS4_PKfi,"axG",@progbits,_ZN4vllm24act_and_mul_quant_kernelIN3c108BFloat16ETnPFT_RKS3_EXadL_ZNS_11silu_kernelIS2_EES3_S5_EENS1_13Float8_e4m3fnEEEvPT1_PS4_PKfi,comdat
	.protected	_ZN4vllm24act_and_mul_quant_kernelIN3c108BFloat16ETnPFT_RKS3_EXadL_ZNS_11silu_kernelIS2_EES3_S5_EENS1_13Float8_e4m3fnEEEvPT1_PS4_PKfi ; -- Begin function _ZN4vllm24act_and_mul_quant_kernelIN3c108BFloat16ETnPFT_RKS3_EXadL_ZNS_11silu_kernelIS2_EES3_S5_EENS1_13Float8_e4m3fnEEEvPT1_PS4_PKfi
	.globl	_ZN4vllm24act_and_mul_quant_kernelIN3c108BFloat16ETnPFT_RKS3_EXadL_ZNS_11silu_kernelIS2_EES3_S5_EENS1_13Float8_e4m3fnEEEvPT1_PS4_PKfi
	.p2align	8
	.type	_ZN4vllm24act_and_mul_quant_kernelIN3c108BFloat16ETnPFT_RKS3_EXadL_ZNS_11silu_kernelIS2_EES3_S5_EENS1_13Float8_e4m3fnEEEvPT1_PS4_PKfi,@function
_ZN4vllm24act_and_mul_quant_kernelIN3c108BFloat16ETnPFT_RKS3_EXadL_ZNS_11silu_kernelIS2_EES3_S5_EENS1_13Float8_e4m3fnEEEvPT1_PS4_PKfi: ; @_ZN4vllm24act_and_mul_quant_kernelIN3c108BFloat16ETnPFT_RKS3_EXadL_ZNS_11silu_kernelIS2_EES3_S5_EENS1_13Float8_e4m3fnEEEvPT1_PS4_PKfi
; %bb.0:
	s_clause 0x2
	s_load_b32 s2, s[0:1], 0x24
	s_load_b32 s10, s[0:1], 0x18
	s_load_b64 s[14:15], s[0:1], 0x8
	s_mov_b32 s12, ttmp9
	s_mov_b32 s13, 0
	s_wait_kmcnt 0x0
	s_abs_i32 s3, s2
	s_add_co_i32 s6, s10, s2
	s_cvt_f32_u32 s4, s3
	s_sub_co_i32 s5, 0, s3
	s_add_co_i32 s6, s6, -1
	s_delay_alu instid0(SALU_CYCLE_1) | instskip(SKIP_2) | instid1(SALU_CYCLE_1)
	s_abs_i32 s7, s6
	v_rcp_iflag_f32_e32 v1, s4
	s_xor_b32 s2, s6, s2
	s_ashr_i32 s2, s2, 31
	s_delay_alu instid0(TRANS32_DEP_1) | instskip(SKIP_2) | instid1(SALU_CYCLE_2)
	v_readfirstlane_b32 s4, v1
	s_mul_f32 s4, s4, 0x4f7ffffe
	s_wait_alu 0xfffe
	s_cvt_u32_f32 s4, s4
	s_wait_alu 0xfffe
	s_delay_alu instid0(SALU_CYCLE_2)
	s_mul_i32 s5, s5, s4
	s_wait_alu 0xfffe
	s_mul_hi_u32 s5, s4, s5
	s_wait_alu 0xfffe
	s_add_co_i32 s4, s4, s5
	s_wait_alu 0xfffe
	s_mul_hi_u32 s4, s7, s4
	s_wait_alu 0xfffe
	s_mul_i32 s5, s4, s3
	s_add_co_i32 s6, s4, 1
	s_wait_alu 0xfffe
	s_sub_co_i32 s5, s7, s5
	s_wait_alu 0xfffe
	s_sub_co_i32 s7, s5, s3
	s_cmp_ge_u32 s5, s3
	s_cselect_b32 s4, s6, s4
	s_cselect_b32 s5, s7, s5
	s_wait_alu 0xfffe
	s_add_co_i32 s6, s4, 1
	s_cmp_ge_u32 s5, s3
	s_cselect_b32 s3, s6, s4
	s_delay_alu instid0(SALU_CYCLE_1) | instskip(NEXT) | instid1(SALU_CYCLE_1)
	s_xor_b32 s3, s3, s2
	s_sub_co_i32 s2, s3, s2
	s_delay_alu instid0(SALU_CYCLE_1) | instskip(NEXT) | instid1(SALU_CYCLE_1)
	s_and_b32 s3, s2, 7
	s_cmp_eq_u32 s3, 0
	s_cbranch_scc1 .LBB4_2
; %bb.1:
	s_ashr_i32 s3, s2, 31
	s_delay_alu instid0(SALU_CYCLE_1) | instskip(NEXT) | instid1(SALU_CYCLE_1)
	s_lshr_b32 s3, s3, 29
	s_add_co_i32 s2, s2, s3
	s_delay_alu instid0(SALU_CYCLE_1) | instskip(NEXT) | instid1(SALU_CYCLE_1)
	s_and_b32 s2, s2, -8
	s_add_co_i32 s2, s2, 8
.LBB4_2:
	s_delay_alu instid0(SALU_CYCLE_1)
	s_mul_i32 s3, s2, ttmp7
	s_clause 0x1
	s_load_b64 s[4:5], s[0:1], 0x10
	s_load_b64 s[18:19], s[0:1], 0x0
	s_add_co_i32 s2, s3, s2
	s_ashr_i32 s11, s10, 31
	s_min_i32 s8, s2, s10
	s_add_nc_u64 s[20:21], s[0:1], 32
	s_abs_i32 s2, s8
	s_mul_u64 s[16:17], s[10:11], s[12:13]
	s_cvt_f32_u32 s6, s2
	s_mov_b32 s26, exec_lo
	s_delay_alu instid0(SALU_CYCLE_2) | instskip(SKIP_3) | instid1(TRANS32_DEP_1)
	v_rcp_iflag_f32_e32 v1, s6
	s_sub_co_i32 s6, 0, s2
	s_wait_kmcnt 0x0
	s_load_b32 s4, s[4:5], 0x0
	v_readfirstlane_b32 s5, v1
	s_mul_f32 s5, s5, 0x4f7ffffe
	s_wait_alu 0xfffe
	s_delay_alu instid0(SALU_CYCLE_2) | instskip(SKIP_1) | instid1(SALU_CYCLE_2)
	s_cvt_u32_f32 s5, s5
	s_wait_alu 0xfffe
	s_mul_i32 s6, s6, s5
	s_wait_alu 0xfffe
	s_mul_hi_u32 s6, s5, s6
	s_wait_alu 0xfffe
	s_add_co_i32 s5, s5, s6
	s_wait_kmcnt 0x0
	v_div_scale_f32 v1, null, s4, s4, 1.0
	s_wait_alu 0xfffe
	s_lshr_b32 s5, s5, 29
	v_div_scale_f32 v4, vcc_lo, 1.0, s4, 1.0
	s_wait_alu 0xfffe
	s_mul_i32 s5, s5, s2
	v_rcp_f32_e32 v2, v1
	s_wait_alu 0xfffe
	s_sub_co_i32 s5, 8, s5
	v_xor_b32_e32 v1, 0x80000000, v1
	s_wait_alu 0xfffe
	s_sub_co_i32 s6, s5, s2
	s_cmp_ge_u32 s5, s2
	s_wait_alu 0xfffe
	s_cselect_b32 s5, s6, s5
	s_wait_alu 0xfffe
	s_sub_co_i32 s6, s5, s2
	s_cmp_ge_u32 s5, s2
	v_fma_f32 v3, v1, v2, 1.0
	s_wait_alu 0xfffe
	s_cselect_b32 s9, s6, s5
	s_delay_alu instid0(SALU_CYCLE_1)
	s_cmp_eq_u32 s9, 0
	s_cselect_b32 s2, -1, 0
	s_ashr_i32 s5, s3, 31
	v_cndmask_b32_e64 v8, 0, 1, s2
	s_wait_alu 0xfffe
	s_lshr_b32 s5, s5, 29
	s_wait_alu 0xfffe
	s_add_co_i32 s3, s3, s5
	s_wait_alu 0xfffe
	s_ashr_i32 s2, s3, 3
	s_wait_alu 0xfffe
	v_dual_fmac_f32 v2, v3, v2 :: v_dual_add_nc_u32 v9, s2, v0
	s_delay_alu instid0(VALU_DEP_1) | instskip(NEXT) | instid1(VALU_DEP_1)
	v_mul_f32_e32 v3, v4, v2
	v_fma_f32 v5, v1, v3, v4
	s_delay_alu instid0(VALU_DEP_1) | instskip(NEXT) | instid1(VALU_DEP_1)
	v_fmac_f32_e32 v3, v5, v2
	v_fmac_f32_e32 v4, v1, v3
	s_delay_alu instid0(VALU_DEP_1) | instskip(NEXT) | instid1(VALU_DEP_1)
	v_div_fmas_f32 v1, v4, v2, v3
	v_div_fixup_f32 v7, v1, s4, 1.0
	v_cmpx_lt_i32_e64 v9, v8
	s_cbranch_execz .LBB4_5
; %bb.3:
	s_load_b32 s4, s[20:21], 0xc
	s_ashr_i32 s0, s2, 31
	v_add_co_u32 v1, s1, s2, v0
	s_delay_alu instid0(VALU_DEP_1)
	v_add_co_ci_u32_e64 v2, null, s0, 0, s1
	s_add_nc_u64 s[2:3], s[18:19], s[16:17]
	s_lshl_b64 s[0:1], s[12:13], 2
	s_lshl_b64 s[22:23], s[16:17], 2
	v_lshlrev_b64_e32 v[3:4], 4, v[1:2]
	v_lshlrev_b64_e32 v[1:2], 3, v[1:2]
	s_wait_alu 0xfffe
	s_or_b32 s0, s0, 2
	s_mov_b32 s27, 0
	s_wait_alu 0xfffe
	s_mul_u64 s[24:25], s[0:1], s[10:11]
	s_mov_b32 s31, 0x43e00000
	v_add_co_u32 v10, vcc_lo, s14, v3
	s_wait_alu 0xfffd
	v_add_co_ci_u32_e64 v11, null, s15, v4, vcc_lo
	v_add_co_u32 v1, vcc_lo, s2, v1
	s_wait_alu 0xfffd
	v_add_co_ci_u32_e64 v2, null, s3, v2, vcc_lo
	s_wait_kmcnt 0x0
	s_and_b32 s28, s4, 0xffff
	s_delay_alu instid0(SALU_CYCLE_1)
	s_lshl_b32 s29, s28, 4
	s_lshl_b32 s30, s28, 3
.LBB4_4:                                ; =>This Inner Loop Header: Depth=1
	v_add_co_u32 v3, vcc_lo, v10, s22
	s_wait_alu 0xfffd
	v_add_co_ci_u32_e64 v4, null, s23, v11, vcc_lo
	v_add_co_u32 v5, vcc_lo, v10, s24
	s_wait_alu 0xfffd
	v_add_co_ci_u32_e64 v6, null, s25, v11, vcc_lo
	s_clause 0x1
	global_load_b128 v[20:23], v[3:4], off
	global_load_b128 v[3:6], v[5:6], off
	v_add_co_u32 v10, vcc_lo, v10, s29
	s_wait_alu 0xfffd
	v_add_co_ci_u32_e64 v11, null, 0, v11, vcc_lo
	v_dual_mov_b32 v12, 0 :: v_dual_mov_b32 v13, 0
	v_dual_mov_b32 v18, 0 :: v_dual_mov_b32 v19, 0
	;; [unrolled: 1-line block ×4, first 2 shown]
	s_wait_loadcnt 0x1
	v_and_b32_e32 v30, 0xffff0000, v23
	v_and_b32_e32 v24, 0xffff0000, v20
	;; [unrolled: 1-line block ×3, first 2 shown]
	s_delay_alu instid0(VALU_DEP_3) | instskip(NEXT) | instid1(VALU_DEP_3)
	v_xor_b32_e32 v39, 0x80000000, v30
	v_xor_b32_e32 v33, 0x80000000, v24
	v_cmp_o_f32_e64 s6, v30, v30
	v_cmp_o_f32_e32 vcc_lo, v24, v24
	v_xor_b32_e32 v35, 0x80000000, v26
	v_bfe_u32 v47, v39, 16, 1
	v_bfe_u32 v41, v33, 16, 1
	v_cmp_o_f32_e64 s2, v26, v26
	s_delay_alu instid0(VALU_DEP_4) | instskip(NEXT) | instid1(VALU_DEP_4)
	v_bfe_u32 v43, v35, 16, 1
	v_add3_u32 v39, v39, v47, 0x7fff
	s_delay_alu instid0(VALU_DEP_4) | instskip(NEXT) | instid1(VALU_DEP_3)
	v_add3_u32 v33, v33, v41, 0x7fff
	v_add3_u32 v35, v35, v43, 0x7fff
	s_delay_alu instid0(VALU_DEP_3) | instskip(NEXT) | instid1(VALU_DEP_3)
	v_and_b32_e32 v39, 0xffff0000, v39
	v_and_b32_e32 v33, 0xffff0000, v33
	v_lshlrev_b32_e32 v20, 16, v20
	s_wait_alu 0xf1ff
	s_delay_alu instid0(VALU_DEP_3)
	v_cndmask_b32_e64 v39, 0x7fc00000, v39, s6
	s_wait_alu 0xfffd
	v_cndmask_b32_e32 v33, 0x7fc00000, v33, vcc_lo
	v_xor_b32_e32 v32, 0x80000000, v20
	v_cmp_o_f32_e64 s7, v20, v20
	v_mul_f32_e32 v47, 0x3fb8aa3b, v39
	s_delay_alu instid0(VALU_DEP_4) | instskip(NEXT) | instid1(VALU_DEP_4)
	v_cmp_ngt_f32_e32 vcc_lo, 0xc2ce8ed0, v33
	v_bfe_u32 v40, v32, 16, 1
	v_mul_f32_e32 v41, 0x3fb8aa3b, v33
	v_cmp_ngt_f32_e64 s6, 0xc2ce8ed0, v39
	v_rndne_f32_e32 v63, v47
	v_and_b32_e32 v28, 0xffff0000, v22
	v_fma_f32 v62, 0x3fb8aa3b, v39, -v47
	v_lshlrev_b32_e32 v22, 16, v22
	v_fma_f32 v50, 0x3fb8aa3b, v33, -v41
	v_sub_f32_e32 v47, v47, v63
	v_xor_b32_e32 v37, 0x80000000, v28
	v_lshlrev_b32_e32 v23, 16, v23
	v_cmp_o_f32_e64 s4, v28, v28
	v_fmac_f32_e32 v50, 0x32a5705f, v33
	v_xor_b32_e32 v36, 0x80000000, v22
	v_bfe_u32 v45, v37, 16, 1
	v_xor_b32_e32 v38, 0x80000000, v23
	v_cmp_o_f32_e64 s5, v23, v23
	v_cmp_o_f32_e64 s3, v22, v22
	v_bfe_u32 v44, v36, 16, 1
	v_add3_u32 v37, v37, v45, 0x7fff
	v_bfe_u32 v46, v38, 16, 1
	v_add3_u32 v32, v32, v40, 0x7fff
	v_fmac_f32_e32 v62, 0x32a5705f, v39
	v_add3_u32 v36, v36, v44, 0x7fff
	v_and_b32_e32 v37, 0xffff0000, v37
	v_add3_u32 v38, v38, v46, 0x7fff
	v_rndne_f32_e32 v51, v41
	v_cvt_i32_f32_e32 v63, v63
	v_add_f32_e32 v47, v47, v62
	s_wait_alu 0xf1ff
	v_cndmask_b32_e64 v37, 0x7fc00000, v37, s4
	v_dual_sub_f32 v41, v41, v51 :: v_dual_and_b32 v38, 0xffff0000, v38
	v_cvt_i32_f32_e32 v51, v51
	v_exp_f32_e32 v47, v47
	s_delay_alu instid0(VALU_DEP_3) | instskip(NEXT) | instid1(VALU_DEP_3)
	v_mul_f32_e32 v45, 0x3fb8aa3b, v37
	v_cndmask_b32_e64 v38, 0x7fc00000, v38, s5
	s_wait_loadcnt 0x0
	v_lshlrev_b32_e32 v27, 16, v4
	v_add_f32_e32 v41, v41, v50
	v_cmp_ngt_f32_e64 s4, 0xc2ce8ed0, v37
	v_fma_f32 v58, 0x3fb8aa3b, v37, -v45
	v_rndne_f32_e32 v59, v45
	v_and_b32_e32 v4, 0xffff0000, v4
	v_mul_f32_e32 v46, 0x3fb8aa3b, v38
	v_exp_f32_e32 v41, v41
	s_delay_alu instid0(VALU_DEP_3) | instskip(SKIP_1) | instid1(VALU_DEP_3)
	v_dual_fmac_f32 v58, 0x32a5705f, v37 :: v_dual_sub_f32 v45, v45, v59
	v_and_b32_e32 v36, 0xffff0000, v36
	v_fma_f32 v60, 0x3fb8aa3b, v38, -v46
	v_rndne_f32_e32 v61, v46
	v_cvt_i32_f32_e32 v59, v59
	v_add_f32_e32 v45, v45, v58
	v_cndmask_b32_e64 v36, 0x7fc00000, v36, s3
	v_dual_fmac_f32 v60, 0x32a5705f, v38 :: v_dual_lshlrev_b32 v21, 16, v21
	v_sub_f32_e32 v46, v46, v61
	s_delay_alu instid0(VALU_DEP_4) | instskip(NEXT) | instid1(VALU_DEP_3)
	v_exp_f32_e32 v45, v45
	v_mul_f32_e32 v44, 0x3fb8aa3b, v36
	s_delay_alu instid0(VALU_DEP_3)
	v_xor_b32_e32 v34, 0x80000000, v21
	v_cmp_o_f32_e64 s1, v21, v21
	v_add_f32_e32 v46, v46, v60
	v_cvt_i32_f32_e32 v61, v61
	v_rndne_f32_e32 v57, v44
	v_and_b32_e32 v35, 0xffff0000, v35
	v_bfe_u32 v42, v34, 16, 1
	v_fma_f32 v56, 0x3fb8aa3b, v36, -v44
	v_exp_f32_e32 v46, v46
	v_sub_f32_e32 v44, v44, v57
	v_cndmask_b32_e64 v35, 0x7fc00000, v35, s2
	v_add3_u32 v34, v34, v42, 0x7fff
	v_fmac_f32_e32 v56, 0x32a5705f, v36
	v_cvt_i32_f32_e32 v57, v57
	v_ldexp_f32 v41, v41, v51
	v_mul_f32_e32 v43, 0x3fb8aa3b, v35
	v_and_b32_e32 v34, 0xffff0000, v34
	v_add_f32_e32 v44, v44, v56
	v_cmp_ngt_f32_e64 s2, 0xc2ce8ed0, v35
	v_cmp_ngt_f32_e64 s3, 0xc2ce8ed0, v36
	v_fma_f32 v54, 0x3fb8aa3b, v35, -v43
	v_rndne_f32_e32 v55, v43
	s_wait_alu 0xf1ff
	v_cndmask_b32_e64 v34, 0x7fc00000, v34, s1
	v_lshlrev_b32_e32 v25, 16, v3
	v_exp_f32_e32 v44, v44
	v_fmac_f32_e32 v54, 0x32a5705f, v35
	v_dual_sub_f32 v43, v43, v55 :: v_dual_and_b32 v32, 0xffff0000, v32
	v_mul_f32_e32 v42, 0x3fb8aa3b, v34
	v_cvt_i32_f32_e32 v55, v55
	v_cmp_ngt_f32_e64 s1, 0xc2ce8ed0, v34
	s_delay_alu instid0(VALU_DEP_4) | instskip(SKIP_4) | instid1(VALU_DEP_4)
	v_add_f32_e32 v43, v43, v54
	v_cndmask_b32_e64 v32, 0x7fc00000, v32, s7
	v_add_nc_u32_e32 v9, s28, v9
	v_fma_f32 v52, 0x3fb8aa3b, v34, -v42
	v_rndne_f32_e32 v53, v42
	v_dual_mul_f32 v40, 0x3fb8aa3b, v32 :: v_dual_lshlrev_b32 v31, 16, v6
	v_exp_f32_e32 v43, v43
	s_delay_alu instid0(VALU_DEP_3) | instskip(NEXT) | instid1(VALU_DEP_3)
	v_fmac_f32_e32 v52, 0x32a5705f, v34
	v_sub_f32_e32 v42, v42, v53
	v_cvt_i32_f32_e32 v53, v53
	v_fma_f32 v48, 0x3fb8aa3b, v32, -v40
	v_rndne_f32_e32 v49, v40
	v_and_b32_e32 v3, 0xffff0000, v3
	v_dual_add_f32 v42, v42, v52 :: v_dual_lshlrev_b32 v29, 16, v5
	s_delay_alu instid0(VALU_DEP_4) | instskip(NEXT) | instid1(VALU_DEP_4)
	v_fmac_f32_e32 v48, 0x32a5705f, v32
	v_sub_f32_e32 v40, v40, v49
	v_and_b32_e32 v5, 0xffff0000, v5
	v_cvt_i32_f32_e32 v49, v49
	v_exp_f32_e32 v42, v42
	v_ldexp_f32 v43, v43, v55
	v_add_f32_e32 v40, v40, v48
	s_wait_alu 0xfffd
	v_dual_cndmask_b32 v41, 0, v41 :: v_dual_and_b32 v6, 0xffff0000, v6
	v_ldexp_f32 v44, v44, v57
	v_ldexp_f32 v45, v45, v59
	v_exp_f32_e32 v40, v40
	v_ldexp_f32 v46, v46, v61
	v_cmp_ngt_f32_e64 s5, 0xc2ce8ed0, v38
	v_ldexp_f32 v42, v42, v53
	v_ldexp_f32 v47, v47, v63
	v_cmp_ngt_f32_e64 s7, 0xc2ce8ed0, v32
	v_cmp_nlt_f32_e32 vcc_lo, 0x42b17218, v33
	v_cmp_ge_i32_e64 s0, v9, v8
	s_wait_alu 0xf1ff
	v_cndmask_b32_e64 v33, 0, v42, s1
	v_cmp_nlt_f32_e64 s1, 0x42b17218, v34
	v_ldexp_f32 v40, v40, v49
	v_cndmask_b32_e64 v34, 0, v43, s2
	v_cmp_nlt_f32_e64 s2, 0x42b17218, v35
	v_cndmask_b32_e64 v35, 0, v44, s3
	v_cmp_nlt_f32_e64 s3, 0x42b17218, v36
	v_cndmask_b32_e64 v40, 0, v40, s7
	v_cndmask_b32_e64 v36, 0, v45, s4
	v_cmp_nlt_f32_e64 s4, 0x42b17218, v37
	v_cndmask_b32_e64 v37, 0, v46, s5
	v_cmp_nlt_f32_e64 s5, 0x42b17218, v38
	;; [unrolled: 2-line block ×3, first 2 shown]
	v_cmp_nlt_f32_e64 s7, 0x42b17218, v32
	s_wait_alu 0xf1ff
	v_cndmask_b32_e64 v34, 0x7f800000, v34, s2
	v_cndmask_b32_e64 v33, 0x7f800000, v33, s1
	;; [unrolled: 1-line block ×3, first 2 shown]
	s_wait_alu 0xfffd
	v_cndmask_b32_e32 v39, 0x7f800000, v41, vcc_lo
	v_cndmask_b32_e64 v32, 0x7f800000, v40, s7
	v_cndmask_b32_e64 v38, 0x7f800000, v38, s6
	v_add_f32_e32 v34, 1.0, v34
	v_cndmask_b32_e64 v37, 0x7f800000, v37, s5
	s_delay_alu instid0(VALU_DEP_4)
	v_dual_add_f32 v33, 1.0, v33 :: v_dual_add_f32 v32, 1.0, v32
	v_dual_add_f32 v36, 1.0, v36 :: v_dual_add_f32 v39, 1.0, v39
	v_add_f32_e32 v38, 1.0, v38
	v_div_scale_f32 v46, null, v34, v34, v26
	v_add_f32_e32 v37, 1.0, v37
	v_div_scale_f32 v40, null, v32, v32, v20
	v_div_scale_f32 v42, null, v39, v39, v24
	;; [unrolled: 1-line block ×4, first 2 shown]
	v_rcp_f32_e32 v59, v46
	v_cndmask_b32_e64 v35, 0x7f800000, v35, s3
	v_div_scale_f32 v52, null, v37, v37, v23
	v_rcp_f32_e32 v56, v40
	v_rcp_f32_e32 v57, v42
	;; [unrolled: 1-line block ×4, first 2 shown]
	v_add_f32_e32 v35, 1.0, v35
	v_div_scale_f32 v50, null, v36, v36, v28
	v_rcp_f32_e32 v62, v52
	v_fma_f32 v67, -v46, v59, 1.0
	v_div_scale_f32 v47, s3, v26, v34, v26
	v_div_scale_f32 v48, null, v35, v35, v22
	v_rcp_f32_e32 v61, v50
	v_fma_f32 v64, -v40, v56, 1.0
	v_fma_f32 v65, -v42, v57, 1.0
	;; [unrolled: 1-line block ×4, first 2 shown]
	v_fmac_f32_e32 v59, v67, v59
	v_div_scale_f32 v41, vcc_lo, v20, v32, v20
	v_div_scale_f32 v43, s1, v24, v39, v24
	v_rcp_f32_e32 v60, v48
	v_fma_f32 v70, -v52, v62, 1.0
	v_dual_fmac_f32 v57, v65, v57 :: v_dual_fmac_f32 v56, v64, v56
	v_dual_fmac_f32 v58, v66, v58 :: v_dual_mul_f32 v67, v47, v59
	v_fmac_f32_e32 v63, v71, v63
	v_div_scale_f32 v55, s7, v30, v38, v30
	v_div_scale_f32 v45, s2, v21, v33, v21
	v_fma_f32 v69, -v50, v61, 1.0
	s_delay_alu instid0(VALU_DEP_3)
	v_dual_fmac_f32 v62, v70, v62 :: v_dual_mul_f32 v71, v55, v63
	v_mul_f32_e32 v65, v43, v57
	v_fma_f32 v75, -v46, v67, v47
	v_mul_f32_e32 v64, v41, v56
	v_div_scale_f32 v51, s5, v28, v36, v28
	v_fma_f32 v68, -v48, v60, 1.0
	v_fmac_f32_e32 v61, v69, v61
	v_fma_f32 v79, -v54, v71, v55
	v_dual_mul_f32 v66, v45, v58 :: v_dual_fmac_f32 v67, v75, v59
	v_fma_f32 v72, -v40, v64, v41
	v_fma_f32 v73, -v42, v65, v43
	v_dual_fmac_f32 v60, v68, v60 :: v_dual_mul_f32 v69, v51, v61
	v_fmac_f32_e32 v71, v79, v63
	v_fma_f32 v74, -v44, v66, v45
	s_delay_alu instid0(VALU_DEP_4) | instskip(NEXT) | instid1(VALU_DEP_4)
	v_dual_fmac_f32 v64, v72, v56 :: v_dual_fmac_f32 v65, v73, v57
	v_fma_f32 v77, -v50, v69, v51
	v_div_scale_f32 v49, s4, v22, v35, v22
	s_delay_alu instid0(VALU_DEP_4) | instskip(NEXT) | instid1(VALU_DEP_4)
	v_fmac_f32_e32 v66, v74, v58
	v_fma_f32 v40, -v40, v64, v41
	v_fma_f32 v41, -v42, v65, v43
	v_fmac_f32_e32 v69, v77, v61
	v_fma_f32 v43, -v46, v67, v47
	v_fma_f32 v42, -v44, v66, v45
	s_wait_alu 0xfffd
	v_div_fmas_f32 v40, v40, v56, v64
	s_mov_b32 vcc_lo, s1
	v_div_scale_f32 v53, s6, v23, v37, v23
	s_wait_alu 0xfffe
	v_div_fmas_f32 v41, v41, v57, v65
	s_mov_b32 vcc_lo, s2
	v_div_fixup_f32 v20, v40, v32, v20
	s_wait_alu 0xfffe
	v_div_fmas_f32 v42, v42, v58, v66
	s_mov_b32 vcc_lo, s3
	v_div_fixup_f32 v24, v41, v39, v24
	;; [unrolled: 4-line block ×3, first 2 shown]
	v_lshrrev_b32_e32 v33, 16, v20
	v_mul_f32_e32 v68, v49, v60
	v_fma_f32 v45, -v50, v69, v51
	v_fma_f32 v47, -v54, v71, v55
	v_div_fixup_f32 v26, v32, v34, v26
	v_and_b32_e32 v33, 1, v33
	v_fma_f32 v76, -v48, v68, v49
	v_lshrrev_b32_e32 v32, 16, v24
	v_cmp_o_f32_e64 s1, v24, v24
	v_cmp_o_f32_e64 s2, v21, v21
	v_add3_u32 v33, v20, v33, 0x7fff
	v_fmac_f32_e32 v68, v76, v60
	s_or_b32 s27, s0, s27
	s_delay_alu instid0(VALU_DEP_2) | instskip(NEXT) | instid1(VALU_DEP_2)
	v_and_b32_e32 v33, 0xffff0000, v33
	v_fma_f32 v44, -v48, v68, v49
	s_wait_alu 0xfffe
	s_delay_alu instid0(VALU_DEP_1)
	v_div_fmas_f32 v39, v44, v60, v68
	s_mov_b32 vcc_lo, s5
	s_wait_alu 0xfffe
	v_div_fmas_f32 v40, v45, v61, v69
	s_mov_b32 vcc_lo, s6
	v_div_fixup_f32 v22, v39, v35, v22
	v_lshrrev_b32_e32 v35, 16, v21
	v_mul_f32_e32 v70, v53, v62
	v_div_fixup_f32 v28, v40, v36, v28
	v_lshrrev_b32_e32 v36, 16, v26
	s_delay_alu instid0(VALU_DEP_4) | instskip(NEXT) | instid1(VALU_DEP_4)
	v_and_b32_e32 v35, 1, v35
	v_fma_f32 v78, -v52, v70, v53
	s_delay_alu instid0(VALU_DEP_2) | instskip(NEXT) | instid1(VALU_DEP_1)
	v_add3_u32 v35, v21, v35, 0x7fff
	v_dual_fmac_f32 v70, v78, v62 :: v_dual_and_b32 v35, 0xffff0000, v35
	s_delay_alu instid0(VALU_DEP_1) | instskip(SKIP_1) | instid1(VALU_DEP_1)
	v_fma_f32 v46, -v52, v70, v53
	s_wait_alu 0xfffe
	v_div_fmas_f32 v34, v46, v62, v70
	s_mov_b32 vcc_lo, s7
	s_wait_alu 0xfffe
	v_div_fmas_f32 v39, v47, v63, v71
	v_cmp_o_f32_e32 vcc_lo, v20, v20
	v_and_b32_e32 v32, 1, v32
	v_div_fixup_f32 v23, v34, v37, v23
	v_lshrrev_b32_e32 v37, 16, v28
	v_lshrrev_b32_e32 v34, 16, v22
	s_wait_alu 0xfffd
	v_cndmask_b32_e32 v33, 0x7fc00000, v33, vcc_lo
	v_add3_u32 v32, v24, v32, 0x7fff
	v_and_b32_e32 v36, 1, v36
	v_and_b32_e32 v20, 1, v37
	v_div_fixup_f32 v30, v39, v38, v30
	v_cmp_o_f32_e32 vcc_lo, v26, v26
	v_dual_mul_f32 v25, v33, v25 :: v_dual_and_b32 v32, 0xffff0000, v32
	v_add3_u32 v36, v26, v36, 0x7fff
	v_add3_u32 v20, v28, v20, 0x7fff
	v_lshrrev_b32_e32 v38, 16, v23
	s_delay_alu instid0(VALU_DEP_4) | instskip(SKIP_3) | instid1(VALU_DEP_4)
	v_cndmask_b32_e64 v26, 0x7fc00000, v32, s1
	v_and_b32_e32 v34, 1, v34
	v_lshrrev_b32_e32 v39, 16, v30
	v_cmp_o_f32_e64 s1, v22, v22
	v_dual_mul_f32 v3, v26, v3 :: v_dual_and_b32 v20, 0xffff0000, v20
	s_delay_alu instid0(VALU_DEP_4)
	v_add3_u32 v34, v22, v34, 0x7fff
	v_cndmask_b32_e64 v22, 0x7fc00000, v35, s2
	v_cmp_o_f32_e64 s2, v28, v28
	v_and_b32_e32 v36, 0xffff0000, v36
	v_and_b32_e32 v21, 1, v39
	;; [unrolled: 1-line block ×3, first 2 shown]
	v_bfe_u32 v26, v25, 16, 1
	s_wait_alu 0xf1ff
	v_cndmask_b32_e64 v20, 0x7fc00000, v20, s2
	v_and_b32_e32 v24, 1, v38
	s_wait_alu 0xfffd
	v_cndmask_b32_e32 v28, 0x7fc00000, v36, vcc_lo
	v_add3_u32 v21, v30, v21, 0x7fff
	v_cmp_o_f32_e32 vcc_lo, v23, v23
	v_mul_f32_e32 v5, v20, v5
	v_add3_u32 v24, v23, v24, 0x7fff
	v_cndmask_b32_e64 v23, 0x7fc00000, v32, s1
	v_dual_mul_f32 v22, v22, v27 :: v_dual_and_b32 v21, 0xffff0000, v21
	v_cmp_o_f32_e64 s1, v30, v30
	s_delay_alu instid0(VALU_DEP_4)
	v_and_b32_e32 v24, 0xffff0000, v24
	v_bfe_u32 v27, v3, 16, 1
	v_mul_f32_e32 v23, v23, v29
	v_add3_u32 v26, v25, v26, 0x7fff
	v_mul_f32_e32 v4, v28, v4
	s_wait_alu 0xfffd
	v_cndmask_b32_e32 v24, 0x7fc00000, v24, vcc_lo
	s_wait_alu 0xf1ff
	v_cndmask_b32_e64 v21, 0x7fc00000, v21, s1
	v_cmp_o_f32_e32 vcc_lo, v25, v25
	v_bfe_u32 v25, v5, 16, 1
	v_bfe_u32 v28, v22, 16, 1
	v_add3_u32 v27, v3, v27, 0x7fff
	v_bfe_u32 v29, v23, 16, 1
	v_cmp_o_f32_e64 s1, v3, v3
	v_add3_u32 v25, v5, v25, 0x7fff
	v_mul_f32_e32 v6, v21, v6
	v_and_b32_e32 v21, 0xffff0000, v26
	v_bfe_u32 v20, v4, 16, 1
	v_mul_f32_e32 v24, v24, v31
	v_add3_u32 v28, v22, v28, 0x7fff
	v_and_b32_e32 v26, 0xffff0000, v27
	v_add3_u32 v27, v23, v29, 0x7fff
	v_add3_u32 v20, v4, v20, 0x7fff
	v_cmp_o_f32_e64 s2, v22, v22
	v_and_b32_e32 v25, 0xffff0000, v25
	v_bfe_u32 v22, v6, 16, 1
	v_and_b32_e32 v28, 0xffff0000, v28
	s_wait_alu 0xfffd
	v_cndmask_b32_e32 v21, 0x7fc00000, v21, vcc_lo
	v_bfe_u32 v3, v24, 16, 1
	v_and_b32_e32 v20, 0xffff0000, v20
	v_cmp_o_f32_e32 vcc_lo, v4, v4
	s_wait_alu 0xf1ff
	v_cndmask_b32_e64 v4, 0x7fc00000, v26, s1
	v_and_b32_e32 v26, 0xffff0000, v27
	v_cmp_o_f32_e64 s1, v23, v23
	v_add3_u32 v22, v6, v22, 0x7fff
	v_add3_u32 v3, v24, v3, 0x7fff
	v_cndmask_b32_e64 v23, 0x7fc00000, v28, s2
	v_cmp_o_f32_e64 s2, v5, v5
	s_wait_alu 0xfffd
	v_cndmask_b32_e32 v5, 0x7fc00000, v20, vcc_lo
	s_wait_alu 0xf1ff
	v_cndmask_b32_e64 v20, 0x7fc00000, v26, s1
	v_and_b32_e32 v22, 0xffff0000, v22
	v_cmp_o_f32_e64 s1, v6, v6
	v_mul_f32_e32 v21, v7, v21
	v_dual_mul_f32 v4, v7, v4 :: v_dual_and_b32 v3, 0xffff0000, v3
	v_cmp_o_f32_e32 vcc_lo, v24, v24
	s_wait_alu 0xf1ff
	v_cndmask_b32_e64 v22, 0x7fc00000, v22, s1
	v_minmax_num_f32 v6, v21, s31, 0xc3e00000
	v_minmax_num_f32 v4, v4, s31, 0xc3e00000
	v_cndmask_b32_e64 v21, 0x7fc00000, v25, s2
	s_wait_alu 0xfffd
	v_dual_cndmask_b32 v3, 0x7fc00000, v3 :: v_dual_mul_f32 v20, v7, v20
	v_mul_f32_e32 v22, v7, v22
	v_mul_f32_e32 v5, v7, v5
	v_med3_num_f32 v24, v6, s31, 0xc3e00000
	v_cmp_nlg_f32_e64 vcc_lo, 0x7f800000, |v6|
	v_med3_num_f32 v25, v4, s31, 0xc3e00000
	v_cmp_nlg_f32_e64 s1, 0x7f800000, |v4|
	v_minmax_num_f32 v5, v5, s31, 0xc3e00000
	v_mul_f32_e32 v3, v7, v3
	s_wait_alu 0xfffd
	v_dual_mul_f32 v23, v7, v23 :: v_dual_cndmask_b32 v6, v24, v6
	s_wait_alu 0xf1ff
	v_cndmask_b32_e64 v4, v25, v4, s1
	v_med3_num_f32 v24, v5, s31, 0xc3e00000
	v_cmp_nlg_f32_e64 vcc_lo, 0x7f800000, |v5|
	v_minmax_num_f32 v3, v3, s31, 0xc3e00000
	v_minmax_num_f32 v23, v23, s31, 0xc3e00000
	v_mul_f32_e32 v21, v7, v21
	v_cvt_pk_fp8_f32 v13, v4, v4
	s_wait_alu 0xfffd
	v_cndmask_b32_e32 v5, v24, v5, vcc_lo
	v_med3_num_f32 v4, v3, s31, 0xc3e00000
	v_cmp_nlg_f32_e64 vcc_lo, 0x7f800000, |v3|
	v_minmax_num_f32 v20, v20, s31, 0xc3e00000
	v_med3_num_f32 v26, v23, s31, 0xc3e00000
	v_cmp_nlg_f32_e64 s2, 0x7f800000, |v23|
	v_minmax_num_f32 v21, v21, s31, 0xc3e00000
	s_wait_alu 0xfffd
	v_dual_cndmask_b32 v3, v4, v3 :: v_dual_lshlrev_b32 v4, 8, v13
	v_med3_num_f32 v25, v20, s31, 0xc3e00000
	v_cmp_nlg_f32_e64 s1, 0x7f800000, |v20|
	s_wait_alu 0xf1ff
	v_cndmask_b32_e64 v23, v26, v23, s2
	v_minmax_num_f32 v22, v22, s31, 0xc3e00000
	v_cmp_nlg_f32_e64 s2, 0x7f800000, |v21|
	v_cvt_pk_fp8_f32 v18, v3, v3
	v_and_b32_e32 v3, 0xff00, v4
	v_cvt_pk_fp8_f32 v12, v6, v6
	v_med3_num_f32 v6, v21, s31, 0xc3e00000
	v_cndmask_b32_e64 v20, v25, v20, s1
	v_cvt_pk_fp8_f32 v14, v23, v23
	v_med3_num_f32 v23, v22, s31, 0xc3e00000
	v_cmp_nlg_f32_e64 s1, 0x7f800000, |v22|
	s_wait_alu 0xf1ff
	v_cndmask_b32_e64 v6, v6, v21, s2
	v_cvt_pk_fp8_f32 v15, v5, v5
	v_lshlrev_b32_e32 v13, 16, v14
	v_and_b32_e32 v12, 0xff, v12
	v_cndmask_b32_e64 v5, v23, v22, s1
	v_cvt_pk_fp8_f32 v17, v6, v6
	v_cvt_pk_fp8_f32 v16, v20, v20
	s_delay_alu instid0(VALU_DEP_3) | instskip(SKIP_1) | instid1(VALU_DEP_4)
	v_cvt_pk_fp8_f32 v19, v5, v5
	v_perm_b32 v5, v15, v13, 0x4020c0c
	v_and_b32_e32 v6, 0xff, v17
	v_and_b32_e32 v13, 0xff, v18
	;; [unrolled: 1-line block ×3, first 2 shown]
	v_lshlrev_b32_e32 v14, 24, v19
	v_or3_b32 v3, v5, v3, v12
	v_lshlrev_b32_e32 v5, 8, v6
	v_lshlrev_b32_e32 v6, 16, v13
	s_delay_alu instid0(VALU_DEP_1) | instskip(NEXT) | instid1(VALU_DEP_1)
	v_or_b32_e32 v6, v14, v6
	v_or3_b32 v4, v6, v5, v4
	global_store_b64 v[1:2], v[3:4], off
	v_add_co_u32 v1, vcc_lo, v1, s30
	s_wait_alu 0xfffd
	v_add_co_ci_u32_e64 v2, null, 0, v2, vcc_lo
	s_and_not1_b32 exec_lo, exec_lo, s27
	s_cbranch_execnz .LBB4_4
.LBB4_5:
	s_or_b32 exec_lo, exec_lo, s26
	s_sub_co_i32 s0, 8, s9
	s_wait_alu 0xfffe
	s_cmp_gt_i32 s8, s0
	s_cbranch_scc0 .LBB4_9
; %bb.6:
	v_add_nc_u32_e32 v0, s0, v0
	s_mov_b32 s0, exec_lo
	s_delay_alu instid0(VALU_DEP_1)
	v_cmpx_gt_u32_e64 s8, v0
	s_cbranch_execz .LBB4_9
; %bb.7:
	s_load_b32 s0, s[20:21], 0xc
	v_dual_mov_b32 v1, 0 :: v_dual_lshlrev_b32 v2, 1, v0
	s_lshl_b64 s[6:7], s[12:13], 2
	s_mov_b32 s9, 0
	s_wait_alu 0xfffe
	s_or_b32 s6, s6, 2
	s_add_nc_u64 s[2:3], s[18:19], s[16:17]
	v_add_co_u32 v2, s12, s14, v2
	s_delay_alu instid0(VALU_DEP_1)
	v_add_co_ci_u32_e64 v3, null, s15, 0, s12
	s_lshl_b64 s[4:5], s[16:17], 2
	s_mov_b32 s1, 0x43e00000
	s_wait_alu 0xfffe
	s_mul_u64 s[6:7], s[6:7], s[10:11]
	s_mov_b32 s11, s9
	s_wait_kmcnt 0x0
	s_and_b32 s12, s0, 0xffff
	s_wait_alu 0xfffe
	s_lshl_b32 s10, s12, 1
.LBB4_8:                                ; =>This Inner Loop Header: Depth=1
	v_add_co_u32 v4, vcc_lo, v2, s4
	s_wait_alu 0xfffd
	v_add_co_ci_u32_e64 v5, null, s5, v3, vcc_lo
	global_load_u16 v6, v[4:5], off
	v_add_co_u32 v4, vcc_lo, v2, s6
	s_wait_alu 0xfffd
	v_add_co_ci_u32_e64 v5, null, s7, v3, vcc_lo
	v_add_co_u32 v2, s0, v2, s10
	s_wait_alu 0xf1ff
	v_add_co_ci_u32_e64 v3, null, 0, v3, s0
	global_load_u16 v4, v[4:5], off
	s_wait_loadcnt 0x1
	v_lshlrev_b32_e32 v5, 16, v6
	s_delay_alu instid0(VALU_DEP_1) | instskip(SKIP_3) | instid1(VALU_DEP_3)
	v_xor_b32_e32 v6, 0x80000000, v5
	v_cmp_o_f32_e32 vcc_lo, v5, v5
	s_wait_loadcnt 0x0
	v_lshlrev_b32_e32 v4, 16, v4
	v_bfe_u32 v8, v6, 16, 1
	s_delay_alu instid0(VALU_DEP_1) | instskip(NEXT) | instid1(VALU_DEP_1)
	v_add3_u32 v6, v6, v8, 0x7fff
	v_and_b32_e32 v6, 0xffff0000, v6
	s_wait_alu 0xfffd
	s_delay_alu instid0(VALU_DEP_1) | instskip(NEXT) | instid1(VALU_DEP_1)
	v_cndmask_b32_e32 v6, 0x7fc00000, v6, vcc_lo
	v_mul_f32_e32 v8, 0x3fb8aa3b, v6
	v_cmp_ngt_f32_e32 vcc_lo, 0xc2ce8ed0, v6
	s_delay_alu instid0(VALU_DEP_2) | instskip(SKIP_1) | instid1(VALU_DEP_2)
	v_fma_f32 v9, 0x3fb8aa3b, v6, -v8
	v_rndne_f32_e32 v10, v8
	v_fmac_f32_e32 v9, 0x32a5705f, v6
	s_delay_alu instid0(VALU_DEP_2) | instskip(NEXT) | instid1(VALU_DEP_1)
	v_sub_f32_e32 v8, v8, v10
	v_add_f32_e32 v8, v8, v9
	v_cvt_i32_f32_e32 v9, v10
	s_delay_alu instid0(VALU_DEP_2) | instskip(NEXT) | instid1(TRANS32_DEP_1)
	v_exp_f32_e32 v8, v8
	v_ldexp_f32 v8, v8, v9
	s_wait_alu 0xfffd
	s_delay_alu instid0(VALU_DEP_1) | instskip(SKIP_2) | instid1(VALU_DEP_2)
	v_cndmask_b32_e32 v8, 0, v8, vcc_lo
	v_cmp_nlt_f32_e32 vcc_lo, 0x42b17218, v6
	s_wait_alu 0xfffd
	v_cndmask_b32_e32 v6, 0x7f800000, v8, vcc_lo
	s_delay_alu instid0(VALU_DEP_1) | instskip(NEXT) | instid1(VALU_DEP_1)
	v_add_f32_e32 v6, 1.0, v6
	v_div_scale_f32 v8, null, v6, v6, v5
	v_div_scale_f32 v11, vcc_lo, v5, v6, v5
	s_delay_alu instid0(VALU_DEP_2) | instskip(NEXT) | instid1(TRANS32_DEP_1)
	v_rcp_f32_e32 v9, v8
	v_fma_f32 v10, -v8, v9, 1.0
	s_delay_alu instid0(VALU_DEP_1) | instskip(NEXT) | instid1(VALU_DEP_1)
	v_fmac_f32_e32 v9, v10, v9
	v_mul_f32_e32 v10, v11, v9
	s_delay_alu instid0(VALU_DEP_1) | instskip(NEXT) | instid1(VALU_DEP_1)
	v_fma_f32 v12, -v8, v10, v11
	v_fmac_f32_e32 v10, v12, v9
	s_delay_alu instid0(VALU_DEP_1) | instskip(SKIP_1) | instid1(VALU_DEP_1)
	v_fma_f32 v8, -v8, v10, v11
	s_wait_alu 0xfffd
	v_div_fmas_f32 v8, v8, v9, v10
	v_mov_b32_e32 v9, 0
	s_delay_alu instid0(VALU_DEP_2) | instskip(NEXT) | instid1(VALU_DEP_1)
	v_div_fixup_f32 v5, v8, v6, v5
	v_bfe_u32 v6, v5, 16, 1
	v_cmp_o_f32_e32 vcc_lo, v5, v5
	s_delay_alu instid0(VALU_DEP_2) | instskip(NEXT) | instid1(VALU_DEP_1)
	v_add3_u32 v6, v5, v6, 0x7fff
	v_and_b32_e32 v6, 0xffff0000, v6
	s_wait_alu 0xfffd
	s_delay_alu instid0(VALU_DEP_1) | instskip(NEXT) | instid1(VALU_DEP_1)
	v_cndmask_b32_e32 v5, 0x7fc00000, v6, vcc_lo
	v_mul_f32_e32 v4, v5, v4
	s_delay_alu instid0(VALU_DEP_1) | instskip(SKIP_1) | instid1(VALU_DEP_2)
	v_bfe_u32 v5, v4, 16, 1
	v_cmp_o_f32_e32 vcc_lo, v4, v4
	v_add3_u32 v5, v4, v5, 0x7fff
	s_delay_alu instid0(VALU_DEP_1) | instskip(SKIP_1) | instid1(VALU_DEP_1)
	v_and_b32_e32 v5, 0xffff0000, v5
	s_wait_alu 0xfffd
	v_cndmask_b32_e32 v4, 0x7fc00000, v5, vcc_lo
	s_delay_alu instid0(VALU_DEP_1) | instskip(SKIP_1) | instid1(VALU_DEP_2)
	v_mul_f32_e32 v5, v7, v4
	v_add_co_u32 v4, vcc_lo, s2, v0
	v_minmax_num_f32 v6, v5, s1, 0xc3e00000
	s_wait_alu 0xfffd
	v_add_co_ci_u32_e64 v5, null, s3, v1, vcc_lo
	v_add_co_u32 v0, vcc_lo, v0, s12
	s_delay_alu instid0(VALU_DEP_3)
	v_med3_num_f32 v8, v6, s1, 0xc3e00000
	s_wait_alu 0xfffd
	v_add_co_ci_u32_e64 v1, null, 0, v1, vcc_lo
	v_cmp_nlg_f32_e64 vcc_lo, 0x7f800000, |v6|
	s_wait_alu 0xfffd
	v_cndmask_b32_e32 v6, v8, v6, vcc_lo
	s_delay_alu instid0(VALU_DEP_3) | instskip(NEXT) | instid1(VALU_DEP_2)
	v_cmp_le_u64_e32 vcc_lo, s[8:9], v[0:1]
	v_cvt_pk_fp8_f32 v9, v6, v6
	s_or_b32 s11, vcc_lo, s11
	global_store_b8 v[4:5], v9, off
	s_wait_alu 0xfffe
	s_and_not1_b32 exec_lo, exec_lo, s11
	s_cbranch_execnz .LBB4_8
.LBB4_9:
	s_endpgm
	.section	.rodata,"a",@progbits
	.p2align	6, 0x0
	.amdhsa_kernel _ZN4vllm24act_and_mul_quant_kernelIN3c108BFloat16ETnPFT_RKS3_EXadL_ZNS_11silu_kernelIS2_EES3_S5_EENS1_13Float8_e4m3fnEEEvPT1_PS4_PKfi
		.amdhsa_group_segment_fixed_size 0
		.amdhsa_private_segment_fixed_size 0
		.amdhsa_kernarg_size 288
		.amdhsa_user_sgpr_count 2
		.amdhsa_user_sgpr_dispatch_ptr 0
		.amdhsa_user_sgpr_queue_ptr 0
		.amdhsa_user_sgpr_kernarg_segment_ptr 1
		.amdhsa_user_sgpr_dispatch_id 0
		.amdhsa_user_sgpr_private_segment_size 0
		.amdhsa_wavefront_size32 1
		.amdhsa_uses_dynamic_stack 0
		.amdhsa_enable_private_segment 0
		.amdhsa_system_sgpr_workgroup_id_x 1
		.amdhsa_system_sgpr_workgroup_id_y 1
		.amdhsa_system_sgpr_workgroup_id_z 0
		.amdhsa_system_sgpr_workgroup_info 0
		.amdhsa_system_vgpr_workitem_id 0
		.amdhsa_next_free_vgpr 80
		.amdhsa_next_free_sgpr 32
		.amdhsa_reserve_vcc 1
		.amdhsa_float_round_mode_32 0
		.amdhsa_float_round_mode_16_64 0
		.amdhsa_float_denorm_mode_32 3
		.amdhsa_float_denorm_mode_16_64 3
		.amdhsa_fp16_overflow 0
		.amdhsa_workgroup_processor_mode 1
		.amdhsa_memory_ordered 1
		.amdhsa_forward_progress 1
		.amdhsa_inst_pref_size 41
		.amdhsa_round_robin_scheduling 0
		.amdhsa_exception_fp_ieee_invalid_op 0
		.amdhsa_exception_fp_denorm_src 0
		.amdhsa_exception_fp_ieee_div_zero 0
		.amdhsa_exception_fp_ieee_overflow 0
		.amdhsa_exception_fp_ieee_underflow 0
		.amdhsa_exception_fp_ieee_inexact 0
		.amdhsa_exception_int_div_zero 0
	.end_amdhsa_kernel
	.section	.text._ZN4vllm24act_and_mul_quant_kernelIN3c108BFloat16ETnPFT_RKS3_EXadL_ZNS_11silu_kernelIS2_EES3_S5_EENS1_13Float8_e4m3fnEEEvPT1_PS4_PKfi,"axG",@progbits,_ZN4vllm24act_and_mul_quant_kernelIN3c108BFloat16ETnPFT_RKS3_EXadL_ZNS_11silu_kernelIS2_EES3_S5_EENS1_13Float8_e4m3fnEEEvPT1_PS4_PKfi,comdat
.Lfunc_end4:
	.size	_ZN4vllm24act_and_mul_quant_kernelIN3c108BFloat16ETnPFT_RKS3_EXadL_ZNS_11silu_kernelIS2_EES3_S5_EENS1_13Float8_e4m3fnEEEvPT1_PS4_PKfi, .Lfunc_end4-_ZN4vllm24act_and_mul_quant_kernelIN3c108BFloat16ETnPFT_RKS3_EXadL_ZNS_11silu_kernelIS2_EES3_S5_EENS1_13Float8_e4m3fnEEEvPT1_PS4_PKfi
                                        ; -- End function
	.set _ZN4vllm24act_and_mul_quant_kernelIN3c108BFloat16ETnPFT_RKS3_EXadL_ZNS_11silu_kernelIS2_EES3_S5_EENS1_13Float8_e4m3fnEEEvPT1_PS4_PKfi.num_vgpr, 80
	.set _ZN4vllm24act_and_mul_quant_kernelIN3c108BFloat16ETnPFT_RKS3_EXadL_ZNS_11silu_kernelIS2_EES3_S5_EENS1_13Float8_e4m3fnEEEvPT1_PS4_PKfi.num_agpr, 0
	.set _ZN4vllm24act_and_mul_quant_kernelIN3c108BFloat16ETnPFT_RKS3_EXadL_ZNS_11silu_kernelIS2_EES3_S5_EENS1_13Float8_e4m3fnEEEvPT1_PS4_PKfi.numbered_sgpr, 32
	.set _ZN4vllm24act_and_mul_quant_kernelIN3c108BFloat16ETnPFT_RKS3_EXadL_ZNS_11silu_kernelIS2_EES3_S5_EENS1_13Float8_e4m3fnEEEvPT1_PS4_PKfi.num_named_barrier, 0
	.set _ZN4vllm24act_and_mul_quant_kernelIN3c108BFloat16ETnPFT_RKS3_EXadL_ZNS_11silu_kernelIS2_EES3_S5_EENS1_13Float8_e4m3fnEEEvPT1_PS4_PKfi.private_seg_size, 0
	.set _ZN4vllm24act_and_mul_quant_kernelIN3c108BFloat16ETnPFT_RKS3_EXadL_ZNS_11silu_kernelIS2_EES3_S5_EENS1_13Float8_e4m3fnEEEvPT1_PS4_PKfi.uses_vcc, 1
	.set _ZN4vllm24act_and_mul_quant_kernelIN3c108BFloat16ETnPFT_RKS3_EXadL_ZNS_11silu_kernelIS2_EES3_S5_EENS1_13Float8_e4m3fnEEEvPT1_PS4_PKfi.uses_flat_scratch, 0
	.set _ZN4vllm24act_and_mul_quant_kernelIN3c108BFloat16ETnPFT_RKS3_EXadL_ZNS_11silu_kernelIS2_EES3_S5_EENS1_13Float8_e4m3fnEEEvPT1_PS4_PKfi.has_dyn_sized_stack, 0
	.set _ZN4vllm24act_and_mul_quant_kernelIN3c108BFloat16ETnPFT_RKS3_EXadL_ZNS_11silu_kernelIS2_EES3_S5_EENS1_13Float8_e4m3fnEEEvPT1_PS4_PKfi.has_recursion, 0
	.set _ZN4vllm24act_and_mul_quant_kernelIN3c108BFloat16ETnPFT_RKS3_EXadL_ZNS_11silu_kernelIS2_EES3_S5_EENS1_13Float8_e4m3fnEEEvPT1_PS4_PKfi.has_indirect_call, 0
	.section	.AMDGPU.csdata,"",@progbits
; Kernel info:
; codeLenInByte = 5188
; TotalNumSgprs: 34
; NumVgprs: 80
; ScratchSize: 0
; MemoryBound: 0
; FloatMode: 240
; IeeeMode: 1
; LDSByteSize: 0 bytes/workgroup (compile time only)
; SGPRBlocks: 0
; VGPRBlocks: 9
; NumSGPRsForWavesPerEU: 34
; NumVGPRsForWavesPerEU: 80
; Occupancy: 16
; WaveLimiterHint : 0
; COMPUTE_PGM_RSRC2:SCRATCH_EN: 0
; COMPUTE_PGM_RSRC2:USER_SGPR: 2
; COMPUTE_PGM_RSRC2:TRAP_HANDLER: 0
; COMPUTE_PGM_RSRC2:TGID_X_EN: 1
; COMPUTE_PGM_RSRC2:TGID_Y_EN: 1
; COMPUTE_PGM_RSRC2:TGID_Z_EN: 0
; COMPUTE_PGM_RSRC2:TIDIG_COMP_CNT: 0
	.section	.text._ZN4vllm24act_and_mul_quant_kernelIN3c108BFloat16ETnPFT_RKS3_EXadL_ZNS_11silu_kernelIS2_EES3_S5_EENS1_15Float8_e4m3fnuzEEEvPT1_PS4_PKfi,"axG",@progbits,_ZN4vllm24act_and_mul_quant_kernelIN3c108BFloat16ETnPFT_RKS3_EXadL_ZNS_11silu_kernelIS2_EES3_S5_EENS1_15Float8_e4m3fnuzEEEvPT1_PS4_PKfi,comdat
	.protected	_ZN4vllm24act_and_mul_quant_kernelIN3c108BFloat16ETnPFT_RKS3_EXadL_ZNS_11silu_kernelIS2_EES3_S5_EENS1_15Float8_e4m3fnuzEEEvPT1_PS4_PKfi ; -- Begin function _ZN4vllm24act_and_mul_quant_kernelIN3c108BFloat16ETnPFT_RKS3_EXadL_ZNS_11silu_kernelIS2_EES3_S5_EENS1_15Float8_e4m3fnuzEEEvPT1_PS4_PKfi
	.globl	_ZN4vllm24act_and_mul_quant_kernelIN3c108BFloat16ETnPFT_RKS3_EXadL_ZNS_11silu_kernelIS2_EES3_S5_EENS1_15Float8_e4m3fnuzEEEvPT1_PS4_PKfi
	.p2align	8
	.type	_ZN4vllm24act_and_mul_quant_kernelIN3c108BFloat16ETnPFT_RKS3_EXadL_ZNS_11silu_kernelIS2_EES3_S5_EENS1_15Float8_e4m3fnuzEEEvPT1_PS4_PKfi,@function
_ZN4vllm24act_and_mul_quant_kernelIN3c108BFloat16ETnPFT_RKS3_EXadL_ZNS_11silu_kernelIS2_EES3_S5_EENS1_15Float8_e4m3fnuzEEEvPT1_PS4_PKfi: ; @_ZN4vllm24act_and_mul_quant_kernelIN3c108BFloat16ETnPFT_RKS3_EXadL_ZNS_11silu_kernelIS2_EES3_S5_EENS1_15Float8_e4m3fnuzEEEvPT1_PS4_PKfi
; %bb.0:
	s_clause 0x1
	s_load_b32 s2, s[0:1], 0x24
	s_load_b32 s1, s[0:1], 0x18
	s_wait_kmcnt 0x0
	s_abs_i32 s3, s2
	s_add_co_i32 s5, s1, s2
	s_cvt_f32_u32 s4, s3
	s_add_co_i32 s5, s5, -1
	s_delay_alu instid0(SALU_CYCLE_1) | instskip(NEXT) | instid1(SALU_CYCLE_1)
	s_abs_i32 s6, s5
	v_rcp_iflag_f32_e32 v1, s4
	s_sub_co_i32 s4, 0, s3
	s_xor_b32 s2, s5, s2
	s_delay_alu instid0(SALU_CYCLE_1) | instskip(NEXT) | instid1(TRANS32_DEP_1)
	s_ashr_i32 s2, s2, 31
	v_readfirstlane_b32 s0, v1
	s_mul_f32 s0, s0, 0x4f7ffffe
	s_delay_alu instid0(SALU_CYCLE_3) | instskip(SKIP_1) | instid1(SALU_CYCLE_2)
	s_cvt_u32_f32 s0, s0
	s_wait_alu 0xfffe
	s_mul_i32 s4, s4, s0
	s_wait_alu 0xfffe
	s_mul_hi_u32 s4, s0, s4
	s_wait_alu 0xfffe
	s_add_co_i32 s0, s0, s4
	s_delay_alu instid0(SALU_CYCLE_1) | instskip(NEXT) | instid1(SALU_CYCLE_1)
	s_mul_hi_u32 s0, s6, s0
	s_mul_i32 s4, s0, s3
	s_add_co_i32 s5, s0, 1
	s_wait_alu 0xfffe
	s_sub_co_i32 s4, s6, s4
	s_wait_alu 0xfffe
	s_sub_co_i32 s6, s4, s3
	s_cmp_ge_u32 s4, s3
	s_cselect_b32 s0, s5, s0
	s_cselect_b32 s4, s6, s4
	s_add_co_i32 s5, s0, 1
	s_wait_alu 0xfffe
	s_cmp_ge_u32 s4, s3
	s_cselect_b32 s0, s5, s0
	s_delay_alu instid0(SALU_CYCLE_1) | instskip(NEXT) | instid1(SALU_CYCLE_1)
	s_xor_b32 s0, s0, s2
	s_sub_co_i32 s2, s0, s2
	s_delay_alu instid0(SALU_CYCLE_1) | instskip(NEXT) | instid1(SALU_CYCLE_1)
	s_and_b32 s0, s2, 7
	s_cmp_eq_u32 s0, 0
	s_mov_b32 s0, 0
	s_cbranch_scc1 .LBB5_2
; %bb.1:
	s_ashr_i32 s3, s2, 31
	s_delay_alu instid0(SALU_CYCLE_1) | instskip(NEXT) | instid1(SALU_CYCLE_1)
	s_lshr_b32 s3, s3, 29
	s_add_co_i32 s2, s2, s3
	s_delay_alu instid0(SALU_CYCLE_1) | instskip(NEXT) | instid1(SALU_CYCLE_1)
	s_and_b32 s2, s2, -8
	s_add_co_i32 s2, s2, 8
.LBB5_2:
	s_delay_alu instid0(SALU_CYCLE_1) | instskip(SKIP_2) | instid1(SALU_CYCLE_1)
	s_mul_i32 s4, s2, ttmp7
	s_wait_alu 0xfffe
	s_add_co_i32 s2, s4, s2
	s_min_i32 s1, s2, s1
	s_delay_alu instid0(SALU_CYCLE_1) | instskip(NEXT) | instid1(SALU_CYCLE_1)
	s_abs_i32 s2, s1
	s_cvt_f32_u32 s3, s2
	s_sub_co_i32 s5, 0, s2
	s_delay_alu instid0(SALU_CYCLE_2) | instskip(NEXT) | instid1(TRANS32_DEP_1)
	v_rcp_iflag_f32_e32 v1, s3
	v_readfirstlane_b32 s3, v1
	s_mul_f32 s3, s3, 0x4f7ffffe
	s_wait_alu 0xfffe
	s_delay_alu instid0(SALU_CYCLE_2) | instskip(SKIP_1) | instid1(SALU_CYCLE_2)
	s_cvt_u32_f32 s3, s3
	s_wait_alu 0xfffe
	s_mul_i32 s5, s5, s3
	s_wait_alu 0xfffe
	s_mul_hi_u32 s5, s3, s5
	s_wait_alu 0xfffe
	s_add_co_i32 s3, s3, s5
	s_wait_alu 0xfffe
	s_lshr_b32 s3, s3, 29
	s_wait_alu 0xfffe
	s_mul_i32 s3, s3, s2
	s_wait_alu 0xfffe
	s_sub_co_i32 s3, 8, s3
	s_wait_alu 0xfffe
	s_sub_co_i32 s5, s3, s2
	s_cmp_ge_u32 s3, s2
	s_wait_alu 0xfffe
	s_cselect_b32 s3, s5, s3
	s_wait_alu 0xfffe
	s_sub_co_i32 s5, s3, s2
	s_cmp_ge_u32 s3, s2
	s_wait_alu 0xfffe
	s_cselect_b32 s3, s5, s3
	s_wait_alu 0xfffe
	s_cmp_eq_u32 s3, 0
	s_cselect_b32 s2, -1, 0
	s_ashr_i32 s5, s4, 31
	s_wait_alu 0xfffe
	v_cndmask_b32_e64 v1, 0, 1, s2
	s_lshr_b32 s5, s5, 29
	s_mov_b32 s2, exec_lo
	s_wait_alu 0xfffe
	s_add_co_i32 s4, s4, s5
	s_wait_alu 0xfffe
	s_ashr_i32 s4, s4, 3
	s_wait_alu 0xfffe
	v_add_nc_u32_e32 v2, s4, v0
	s_delay_alu instid0(VALU_DEP_1)
	v_cmpx_ge_i32_e64 v2, v1
	s_xor_b32 s2, exec_lo, s2
	s_cbranch_execnz .LBB5_6
; %bb.3:
	s_wait_alu 0xfffe
	s_and_not1_saveexec_b32 s1, s2
	s_cbranch_execnz .LBB5_8
.LBB5_4:
	s_wait_alu 0xfffe
	s_or_b32 exec_lo, exec_lo, s1
	s_and_saveexec_b32 s1, s0
	s_cbranch_execnz .LBB5_9
.LBB5_5:
	s_endpgm
.LBB5_6:
	s_sub_co_i32 s0, 8, s3
	s_delay_alu instid0(SALU_CYCLE_1) | instskip(NEXT) | instid1(VALU_DEP_1)
	v_add_nc_u32_e32 v0, s0, v0
	v_max_i32_e32 v0, s0, v0
	s_mov_b32 s0, 0
	s_delay_alu instid0(VALU_DEP_1)
	v_cmp_gt_i32_e32 vcc_lo, s1, v0
	s_and_saveexec_b32 s1, vcc_lo
	s_cbranch_execnz .LBB5_10
.LBB5_7:
	s_wait_alu 0xfffe
	s_or_b32 exec_lo, exec_lo, s1
	s_delay_alu instid0(SALU_CYCLE_1)
	s_and_b32 s0, s0, exec_lo
	s_and_not1_saveexec_b32 s1, s2
	s_cbranch_execz .LBB5_4
.LBB5_8:
	s_wait_alu 0xfffe
	s_or_b32 s0, s0, exec_lo
	s_trap 2
	s_or_b32 exec_lo, exec_lo, s1
	s_wait_alu 0xfffe
	s_and_saveexec_b32 s1, s0
	s_cbranch_execz .LBB5_5
.LBB5_9:
	; divergent unreachable
	s_endpgm
.LBB5_10:
	s_mov_b32 s0, exec_lo
	s_trap 2
	s_branch .LBB5_7
	.section	.rodata,"a",@progbits
	.p2align	6, 0x0
	.amdhsa_kernel _ZN4vllm24act_and_mul_quant_kernelIN3c108BFloat16ETnPFT_RKS3_EXadL_ZNS_11silu_kernelIS2_EES3_S5_EENS1_15Float8_e4m3fnuzEEEvPT1_PS4_PKfi
		.amdhsa_group_segment_fixed_size 0
		.amdhsa_private_segment_fixed_size 0
		.amdhsa_kernarg_size 288
		.amdhsa_user_sgpr_count 2
		.amdhsa_user_sgpr_dispatch_ptr 0
		.amdhsa_user_sgpr_queue_ptr 0
		.amdhsa_user_sgpr_kernarg_segment_ptr 1
		.amdhsa_user_sgpr_dispatch_id 0
		.amdhsa_user_sgpr_private_segment_size 0
		.amdhsa_wavefront_size32 1
		.amdhsa_uses_dynamic_stack 0
		.amdhsa_enable_private_segment 0
		.amdhsa_system_sgpr_workgroup_id_x 1
		.amdhsa_system_sgpr_workgroup_id_y 1
		.amdhsa_system_sgpr_workgroup_id_z 0
		.amdhsa_system_sgpr_workgroup_info 0
		.amdhsa_system_vgpr_workitem_id 0
		.amdhsa_next_free_vgpr 3
		.amdhsa_next_free_sgpr 7
		.amdhsa_reserve_vcc 1
		.amdhsa_float_round_mode_32 0
		.amdhsa_float_round_mode_16_64 0
		.amdhsa_float_denorm_mode_32 3
		.amdhsa_float_denorm_mode_16_64 3
		.amdhsa_fp16_overflow 0
		.amdhsa_workgroup_processor_mode 1
		.amdhsa_memory_ordered 1
		.amdhsa_forward_progress 1
		.amdhsa_inst_pref_size 5
		.amdhsa_round_robin_scheduling 0
		.amdhsa_exception_fp_ieee_invalid_op 0
		.amdhsa_exception_fp_denorm_src 0
		.amdhsa_exception_fp_ieee_div_zero 0
		.amdhsa_exception_fp_ieee_overflow 0
		.amdhsa_exception_fp_ieee_underflow 0
		.amdhsa_exception_fp_ieee_inexact 0
		.amdhsa_exception_int_div_zero 0
	.end_amdhsa_kernel
	.section	.text._ZN4vllm24act_and_mul_quant_kernelIN3c108BFloat16ETnPFT_RKS3_EXadL_ZNS_11silu_kernelIS2_EES3_S5_EENS1_15Float8_e4m3fnuzEEEvPT1_PS4_PKfi,"axG",@progbits,_ZN4vllm24act_and_mul_quant_kernelIN3c108BFloat16ETnPFT_RKS3_EXadL_ZNS_11silu_kernelIS2_EES3_S5_EENS1_15Float8_e4m3fnuzEEEvPT1_PS4_PKfi,comdat
.Lfunc_end5:
	.size	_ZN4vllm24act_and_mul_quant_kernelIN3c108BFloat16ETnPFT_RKS3_EXadL_ZNS_11silu_kernelIS2_EES3_S5_EENS1_15Float8_e4m3fnuzEEEvPT1_PS4_PKfi, .Lfunc_end5-_ZN4vllm24act_and_mul_quant_kernelIN3c108BFloat16ETnPFT_RKS3_EXadL_ZNS_11silu_kernelIS2_EES3_S5_EENS1_15Float8_e4m3fnuzEEEvPT1_PS4_PKfi
                                        ; -- End function
	.set _ZN4vllm24act_and_mul_quant_kernelIN3c108BFloat16ETnPFT_RKS3_EXadL_ZNS_11silu_kernelIS2_EES3_S5_EENS1_15Float8_e4m3fnuzEEEvPT1_PS4_PKfi.num_vgpr, 3
	.set _ZN4vllm24act_and_mul_quant_kernelIN3c108BFloat16ETnPFT_RKS3_EXadL_ZNS_11silu_kernelIS2_EES3_S5_EENS1_15Float8_e4m3fnuzEEEvPT1_PS4_PKfi.num_agpr, 0
	.set _ZN4vllm24act_and_mul_quant_kernelIN3c108BFloat16ETnPFT_RKS3_EXadL_ZNS_11silu_kernelIS2_EES3_S5_EENS1_15Float8_e4m3fnuzEEEvPT1_PS4_PKfi.numbered_sgpr, 7
	.set _ZN4vllm24act_and_mul_quant_kernelIN3c108BFloat16ETnPFT_RKS3_EXadL_ZNS_11silu_kernelIS2_EES3_S5_EENS1_15Float8_e4m3fnuzEEEvPT1_PS4_PKfi.num_named_barrier, 0
	.set _ZN4vllm24act_and_mul_quant_kernelIN3c108BFloat16ETnPFT_RKS3_EXadL_ZNS_11silu_kernelIS2_EES3_S5_EENS1_15Float8_e4m3fnuzEEEvPT1_PS4_PKfi.private_seg_size, 0
	.set _ZN4vllm24act_and_mul_quant_kernelIN3c108BFloat16ETnPFT_RKS3_EXadL_ZNS_11silu_kernelIS2_EES3_S5_EENS1_15Float8_e4m3fnuzEEEvPT1_PS4_PKfi.uses_vcc, 1
	.set _ZN4vllm24act_and_mul_quant_kernelIN3c108BFloat16ETnPFT_RKS3_EXadL_ZNS_11silu_kernelIS2_EES3_S5_EENS1_15Float8_e4m3fnuzEEEvPT1_PS4_PKfi.uses_flat_scratch, 0
	.set _ZN4vllm24act_and_mul_quant_kernelIN3c108BFloat16ETnPFT_RKS3_EXadL_ZNS_11silu_kernelIS2_EES3_S5_EENS1_15Float8_e4m3fnuzEEEvPT1_PS4_PKfi.has_dyn_sized_stack, 0
	.set _ZN4vllm24act_and_mul_quant_kernelIN3c108BFloat16ETnPFT_RKS3_EXadL_ZNS_11silu_kernelIS2_EES3_S5_EENS1_15Float8_e4m3fnuzEEEvPT1_PS4_PKfi.has_recursion, 0
	.set _ZN4vllm24act_and_mul_quant_kernelIN3c108BFloat16ETnPFT_RKS3_EXadL_ZNS_11silu_kernelIS2_EES3_S5_EENS1_15Float8_e4m3fnuzEEEvPT1_PS4_PKfi.has_indirect_call, 0
	.section	.AMDGPU.csdata,"",@progbits
; Kernel info:
; codeLenInByte = 604
; TotalNumSgprs: 9
; NumVgprs: 3
; ScratchSize: 0
; MemoryBound: 0
; FloatMode: 240
; IeeeMode: 1
; LDSByteSize: 0 bytes/workgroup (compile time only)
; SGPRBlocks: 0
; VGPRBlocks: 0
; NumSGPRsForWavesPerEU: 9
; NumVGPRsForWavesPerEU: 3
; Occupancy: 16
; WaveLimiterHint : 0
; COMPUTE_PGM_RSRC2:SCRATCH_EN: 0
; COMPUTE_PGM_RSRC2:USER_SGPR: 2
; COMPUTE_PGM_RSRC2:TRAP_HANDLER: 0
; COMPUTE_PGM_RSRC2:TGID_X_EN: 1
; COMPUTE_PGM_RSRC2:TGID_Y_EN: 1
; COMPUTE_PGM_RSRC2:TGID_Z_EN: 0
; COMPUTE_PGM_RSRC2:TIDIG_COMP_CNT: 0
	.section	.AMDGPU.gpr_maximums,"",@progbits
	.set amdgpu.max_num_vgpr, 0
	.set amdgpu.max_num_agpr, 0
	.set amdgpu.max_num_sgpr, 0
	.section	.AMDGPU.csdata,"",@progbits
	.type	__hip_cuid_1d13694fbc683bf8,@object ; @__hip_cuid_1d13694fbc683bf8
	.section	.bss,"aw",@nobits
	.globl	__hip_cuid_1d13694fbc683bf8
__hip_cuid_1d13694fbc683bf8:
	.byte	0                               ; 0x0
	.size	__hip_cuid_1d13694fbc683bf8, 1

	.ident	"AMD clang version 22.0.0git (https://github.com/RadeonOpenCompute/llvm-project roc-7.2.4 26084 f58b06dce1f9c15707c5f808fd002e18c2accf7e)"
	.section	".note.GNU-stack","",@progbits
	.addrsig
	.addrsig_sym __hip_cuid_1d13694fbc683bf8
	.amdgpu_metadata
---
amdhsa.kernels:
  - .args:
      - .actual_access:  write_only
        .address_space:  global
        .offset:         0
        .size:           8
        .value_kind:     global_buffer
      - .actual_access:  read_only
        .address_space:  global
        .offset:         8
        .size:           8
        .value_kind:     global_buffer
      - .address_space:  global
        .offset:         16
        .size:           8
        .value_kind:     global_buffer
      - .offset:         24
        .size:           4
        .value_kind:     by_value
      - .offset:         32
        .size:           4
        .value_kind:     hidden_block_count_x
      - .offset:         36
        .size:           4
        .value_kind:     hidden_block_count_y
      - .offset:         40
        .size:           4
        .value_kind:     hidden_block_count_z
      - .offset:         44
        .size:           2
        .value_kind:     hidden_group_size_x
      - .offset:         46
        .size:           2
        .value_kind:     hidden_group_size_y
      - .offset:         48
        .size:           2
        .value_kind:     hidden_group_size_z
      - .offset:         50
        .size:           2
        .value_kind:     hidden_remainder_x
      - .offset:         52
        .size:           2
        .value_kind:     hidden_remainder_y
      - .offset:         54
        .size:           2
        .value_kind:     hidden_remainder_z
      - .offset:         72
        .size:           8
        .value_kind:     hidden_global_offset_x
      - .offset:         80
        .size:           8
        .value_kind:     hidden_global_offset_y
      - .offset:         88
        .size:           8
        .value_kind:     hidden_global_offset_z
      - .offset:         96
        .size:           2
        .value_kind:     hidden_grid_dims
    .group_segment_fixed_size: 0
    .kernarg_segment_align: 8
    .kernarg_segment_size: 288
    .language:       OpenCL C
    .language_version:
      - 2
      - 0
    .max_flat_workgroup_size: 1024
    .name:           _ZN4vllm24act_and_mul_quant_kernelIfTnPFT_RKS1_EXadL_ZNS_11silu_kernelIfEES1_S3_EEN3c1013Float8_e4m3fnEEEvPT1_PS2_PKfi
    .private_segment_fixed_size: 0
    .sgpr_count:     30
    .sgpr_spill_count: 0
    .symbol:         _ZN4vllm24act_and_mul_quant_kernelIfTnPFT_RKS1_EXadL_ZNS_11silu_kernelIfEES1_S3_EEN3c1013Float8_e4m3fnEEEvPT1_PS2_PKfi.kd
    .uniform_work_group_size: 1
    .uses_dynamic_stack: false
    .vgpr_count:     45
    .vgpr_spill_count: 0
    .wavefront_size: 32
    .workgroup_processor_mode: 1
  - .args:
      - .actual_access:  read_only
        .address_space:  global
        .offset:         0
        .size:           8
        .value_kind:     global_buffer
      - .actual_access:  read_only
        .address_space:  global
        .offset:         8
        .size:           8
        .value_kind:     global_buffer
      - .address_space:  global
        .offset:         16
        .size:           8
        .value_kind:     global_buffer
      - .offset:         24
        .size:           4
        .value_kind:     by_value
      - .offset:         32
        .size:           4
        .value_kind:     hidden_block_count_x
      - .offset:         36
        .size:           4
        .value_kind:     hidden_block_count_y
      - .offset:         40
        .size:           4
        .value_kind:     hidden_block_count_z
      - .offset:         44
        .size:           2
        .value_kind:     hidden_group_size_x
      - .offset:         46
        .size:           2
        .value_kind:     hidden_group_size_y
      - .offset:         48
        .size:           2
        .value_kind:     hidden_group_size_z
      - .offset:         50
        .size:           2
        .value_kind:     hidden_remainder_x
      - .offset:         52
        .size:           2
        .value_kind:     hidden_remainder_y
      - .offset:         54
        .size:           2
        .value_kind:     hidden_remainder_z
      - .offset:         72
        .size:           8
        .value_kind:     hidden_global_offset_x
      - .offset:         80
        .size:           8
        .value_kind:     hidden_global_offset_y
      - .offset:         88
        .size:           8
        .value_kind:     hidden_global_offset_z
      - .offset:         96
        .size:           2
        .value_kind:     hidden_grid_dims
    .group_segment_fixed_size: 0
    .kernarg_segment_align: 8
    .kernarg_segment_size: 288
    .language:       OpenCL C
    .language_version:
      - 2
      - 0
    .max_flat_workgroup_size: 1024
    .name:           _ZN4vllm24act_and_mul_quant_kernelIfTnPFT_RKS1_EXadL_ZNS_11silu_kernelIfEES1_S3_EEN3c1015Float8_e4m3fnuzEEEvPT1_PS2_PKfi
    .private_segment_fixed_size: 0
    .sgpr_count:     9
    .sgpr_spill_count: 0
    .symbol:         _ZN4vllm24act_and_mul_quant_kernelIfTnPFT_RKS1_EXadL_ZNS_11silu_kernelIfEES1_S3_EEN3c1015Float8_e4m3fnuzEEEvPT1_PS2_PKfi.kd
    .uniform_work_group_size: 1
    .uses_dynamic_stack: false
    .vgpr_count:     3
    .vgpr_spill_count: 0
    .wavefront_size: 32
    .workgroup_processor_mode: 1
  - .args:
      - .actual_access:  write_only
        .address_space:  global
        .offset:         0
        .size:           8
        .value_kind:     global_buffer
      - .actual_access:  read_only
        .address_space:  global
        .offset:         8
        .size:           8
        .value_kind:     global_buffer
      - .address_space:  global
        .offset:         16
        .size:           8
        .value_kind:     global_buffer
      - .offset:         24
        .size:           4
        .value_kind:     by_value
      - .offset:         32
        .size:           4
        .value_kind:     hidden_block_count_x
      - .offset:         36
        .size:           4
        .value_kind:     hidden_block_count_y
      - .offset:         40
        .size:           4
        .value_kind:     hidden_block_count_z
      - .offset:         44
        .size:           2
        .value_kind:     hidden_group_size_x
      - .offset:         46
        .size:           2
        .value_kind:     hidden_group_size_y
      - .offset:         48
        .size:           2
        .value_kind:     hidden_group_size_z
      - .offset:         50
        .size:           2
        .value_kind:     hidden_remainder_x
      - .offset:         52
        .size:           2
        .value_kind:     hidden_remainder_y
      - .offset:         54
        .size:           2
        .value_kind:     hidden_remainder_z
      - .offset:         72
        .size:           8
        .value_kind:     hidden_global_offset_x
      - .offset:         80
        .size:           8
        .value_kind:     hidden_global_offset_y
      - .offset:         88
        .size:           8
        .value_kind:     hidden_global_offset_z
      - .offset:         96
        .size:           2
        .value_kind:     hidden_grid_dims
    .group_segment_fixed_size: 0
    .kernarg_segment_align: 8
    .kernarg_segment_size: 288
    .language:       OpenCL C
    .language_version:
      - 2
      - 0
    .max_flat_workgroup_size: 1024
    .name:           _ZN4vllm24act_and_mul_quant_kernelIN3c104HalfETnPFT_RKS3_EXadL_ZNS_11silu_kernelIS2_EES3_S5_EENS1_13Float8_e4m3fnEEEvPT1_PS4_PKfi
    .private_segment_fixed_size: 0
    .sgpr_count:     37
    .sgpr_spill_count: 0
    .symbol:         _ZN4vllm24act_and_mul_quant_kernelIN3c104HalfETnPFT_RKS3_EXadL_ZNS_11silu_kernelIS2_EES3_S5_EENS1_13Float8_e4m3fnEEEvPT1_PS4_PKfi.kd
    .uniform_work_group_size: 1
    .uses_dynamic_stack: false
    .vgpr_count:     76
    .vgpr_spill_count: 0
    .wavefront_size: 32
    .workgroup_processor_mode: 1
  - .args:
      - .actual_access:  read_only
        .address_space:  global
        .offset:         0
        .size:           8
        .value_kind:     global_buffer
      - .actual_access:  read_only
        .address_space:  global
        .offset:         8
        .size:           8
        .value_kind:     global_buffer
      - .address_space:  global
        .offset:         16
        .size:           8
        .value_kind:     global_buffer
      - .offset:         24
        .size:           4
        .value_kind:     by_value
      - .offset:         32
        .size:           4
        .value_kind:     hidden_block_count_x
      - .offset:         36
        .size:           4
        .value_kind:     hidden_block_count_y
      - .offset:         40
        .size:           4
        .value_kind:     hidden_block_count_z
      - .offset:         44
        .size:           2
        .value_kind:     hidden_group_size_x
      - .offset:         46
        .size:           2
        .value_kind:     hidden_group_size_y
      - .offset:         48
        .size:           2
        .value_kind:     hidden_group_size_z
      - .offset:         50
        .size:           2
        .value_kind:     hidden_remainder_x
      - .offset:         52
        .size:           2
        .value_kind:     hidden_remainder_y
      - .offset:         54
        .size:           2
        .value_kind:     hidden_remainder_z
      - .offset:         72
        .size:           8
        .value_kind:     hidden_global_offset_x
      - .offset:         80
        .size:           8
        .value_kind:     hidden_global_offset_y
      - .offset:         88
        .size:           8
        .value_kind:     hidden_global_offset_z
      - .offset:         96
        .size:           2
        .value_kind:     hidden_grid_dims
    .group_segment_fixed_size: 0
    .kernarg_segment_align: 8
    .kernarg_segment_size: 288
    .language:       OpenCL C
    .language_version:
      - 2
      - 0
    .max_flat_workgroup_size: 1024
    .name:           _ZN4vllm24act_and_mul_quant_kernelIN3c104HalfETnPFT_RKS3_EXadL_ZNS_11silu_kernelIS2_EES3_S5_EENS1_15Float8_e4m3fnuzEEEvPT1_PS4_PKfi
    .private_segment_fixed_size: 0
    .sgpr_count:     9
    .sgpr_spill_count: 0
    .symbol:         _ZN4vllm24act_and_mul_quant_kernelIN3c104HalfETnPFT_RKS3_EXadL_ZNS_11silu_kernelIS2_EES3_S5_EENS1_15Float8_e4m3fnuzEEEvPT1_PS4_PKfi.kd
    .uniform_work_group_size: 1
    .uses_dynamic_stack: false
    .vgpr_count:     3
    .vgpr_spill_count: 0
    .wavefront_size: 32
    .workgroup_processor_mode: 1
  - .args:
      - .actual_access:  write_only
        .address_space:  global
        .offset:         0
        .size:           8
        .value_kind:     global_buffer
      - .actual_access:  read_only
        .address_space:  global
        .offset:         8
        .size:           8
        .value_kind:     global_buffer
      - .address_space:  global
        .offset:         16
        .size:           8
        .value_kind:     global_buffer
      - .offset:         24
        .size:           4
        .value_kind:     by_value
      - .offset:         32
        .size:           4
        .value_kind:     hidden_block_count_x
      - .offset:         36
        .size:           4
        .value_kind:     hidden_block_count_y
      - .offset:         40
        .size:           4
        .value_kind:     hidden_block_count_z
      - .offset:         44
        .size:           2
        .value_kind:     hidden_group_size_x
      - .offset:         46
        .size:           2
        .value_kind:     hidden_group_size_y
      - .offset:         48
        .size:           2
        .value_kind:     hidden_group_size_z
      - .offset:         50
        .size:           2
        .value_kind:     hidden_remainder_x
      - .offset:         52
        .size:           2
        .value_kind:     hidden_remainder_y
      - .offset:         54
        .size:           2
        .value_kind:     hidden_remainder_z
      - .offset:         72
        .size:           8
        .value_kind:     hidden_global_offset_x
      - .offset:         80
        .size:           8
        .value_kind:     hidden_global_offset_y
      - .offset:         88
        .size:           8
        .value_kind:     hidden_global_offset_z
      - .offset:         96
        .size:           2
        .value_kind:     hidden_grid_dims
    .group_segment_fixed_size: 0
    .kernarg_segment_align: 8
    .kernarg_segment_size: 288
    .language:       OpenCL C
    .language_version:
      - 2
      - 0
    .max_flat_workgroup_size: 1024
    .name:           _ZN4vllm24act_and_mul_quant_kernelIN3c108BFloat16ETnPFT_RKS3_EXadL_ZNS_11silu_kernelIS2_EES3_S5_EENS1_13Float8_e4m3fnEEEvPT1_PS4_PKfi
    .private_segment_fixed_size: 0
    .sgpr_count:     34
    .sgpr_spill_count: 0
    .symbol:         _ZN4vllm24act_and_mul_quant_kernelIN3c108BFloat16ETnPFT_RKS3_EXadL_ZNS_11silu_kernelIS2_EES3_S5_EENS1_13Float8_e4m3fnEEEvPT1_PS4_PKfi.kd
    .uniform_work_group_size: 1
    .uses_dynamic_stack: false
    .vgpr_count:     80
    .vgpr_spill_count: 0
    .wavefront_size: 32
    .workgroup_processor_mode: 1
  - .args:
      - .actual_access:  read_only
        .address_space:  global
        .offset:         0
        .size:           8
        .value_kind:     global_buffer
      - .actual_access:  read_only
        .address_space:  global
        .offset:         8
        .size:           8
        .value_kind:     global_buffer
      - .address_space:  global
        .offset:         16
        .size:           8
        .value_kind:     global_buffer
      - .offset:         24
        .size:           4
        .value_kind:     by_value
      - .offset:         32
        .size:           4
        .value_kind:     hidden_block_count_x
      - .offset:         36
        .size:           4
        .value_kind:     hidden_block_count_y
      - .offset:         40
        .size:           4
        .value_kind:     hidden_block_count_z
      - .offset:         44
        .size:           2
        .value_kind:     hidden_group_size_x
      - .offset:         46
        .size:           2
        .value_kind:     hidden_group_size_y
      - .offset:         48
        .size:           2
        .value_kind:     hidden_group_size_z
      - .offset:         50
        .size:           2
        .value_kind:     hidden_remainder_x
      - .offset:         52
        .size:           2
        .value_kind:     hidden_remainder_y
      - .offset:         54
        .size:           2
        .value_kind:     hidden_remainder_z
      - .offset:         72
        .size:           8
        .value_kind:     hidden_global_offset_x
      - .offset:         80
        .size:           8
        .value_kind:     hidden_global_offset_y
      - .offset:         88
        .size:           8
        .value_kind:     hidden_global_offset_z
      - .offset:         96
        .size:           2
        .value_kind:     hidden_grid_dims
    .group_segment_fixed_size: 0
    .kernarg_segment_align: 8
    .kernarg_segment_size: 288
    .language:       OpenCL C
    .language_version:
      - 2
      - 0
    .max_flat_workgroup_size: 1024
    .name:           _ZN4vllm24act_and_mul_quant_kernelIN3c108BFloat16ETnPFT_RKS3_EXadL_ZNS_11silu_kernelIS2_EES3_S5_EENS1_15Float8_e4m3fnuzEEEvPT1_PS4_PKfi
    .private_segment_fixed_size: 0
    .sgpr_count:     9
    .sgpr_spill_count: 0
    .symbol:         _ZN4vllm24act_and_mul_quant_kernelIN3c108BFloat16ETnPFT_RKS3_EXadL_ZNS_11silu_kernelIS2_EES3_S5_EENS1_15Float8_e4m3fnuzEEEvPT1_PS4_PKfi.kd
    .uniform_work_group_size: 1
    .uses_dynamic_stack: false
    .vgpr_count:     3
    .vgpr_spill_count: 0
    .wavefront_size: 32
    .workgroup_processor_mode: 1
amdhsa.target:   amdgcn-amd-amdhsa--gfx1201
amdhsa.version:
  - 1
  - 2
...

	.end_amdgpu_metadata
